;; amdgpu-corpus repo=ROCm/rocFFT kind=compiled arch=gfx950 opt=O3
	.text
	.amdgcn_target "amdgcn-amd-amdhsa--gfx950"
	.amdhsa_code_object_version 6
	.protected	fft_rtc_back_len2430_factors_10_3_3_3_3_3_wgs_81_tpt_81_halfLds_sp_ip_CI_unitstride_sbrr_R2C_dirReg ; -- Begin function fft_rtc_back_len2430_factors_10_3_3_3_3_3_wgs_81_tpt_81_halfLds_sp_ip_CI_unitstride_sbrr_R2C_dirReg
	.globl	fft_rtc_back_len2430_factors_10_3_3_3_3_3_wgs_81_tpt_81_halfLds_sp_ip_CI_unitstride_sbrr_R2C_dirReg
	.p2align	8
	.type	fft_rtc_back_len2430_factors_10_3_3_3_3_3_wgs_81_tpt_81_halfLds_sp_ip_CI_unitstride_sbrr_R2C_dirReg,@function
fft_rtc_back_len2430_factors_10_3_3_3_3_3_wgs_81_tpt_81_halfLds_sp_ip_CI_unitstride_sbrr_R2C_dirReg: ; @fft_rtc_back_len2430_factors_10_3_3_3_3_3_wgs_81_tpt_81_halfLds_sp_ip_CI_unitstride_sbrr_R2C_dirReg
; %bb.0:
	s_load_dwordx2 s[8:9], s[0:1], 0x50
	s_load_dwordx4 s[4:7], s[0:1], 0x0
	s_load_dwordx2 s[10:11], s[0:1], 0x18
	v_mul_u32_u24_e32 v1, 0x32a, v0
	v_add_u32_sdwa v6, s2, v1 dst_sel:DWORD dst_unused:UNUSED_PAD src0_sel:DWORD src1_sel:WORD_1
	v_mov_b32_e32 v4, 0
	s_waitcnt lgkmcnt(0)
	v_cmp_lt_u64_e64 s[2:3], s[6:7], 2
	v_mov_b32_e32 v7, v4
	s_and_b64 vcc, exec, s[2:3]
	v_mov_b64_e32 v[2:3], 0
	s_cbranch_vccnz .LBB0_8
; %bb.1:
	s_load_dwordx2 s[2:3], s[0:1], 0x10
	s_add_u32 s12, s10, 8
	s_addc_u32 s13, s11, 0
	s_mov_b64 s[14:15], 1
	v_mov_b64_e32 v[2:3], 0
	s_waitcnt lgkmcnt(0)
	s_add_u32 s16, s2, 8
	s_addc_u32 s17, s3, 0
.LBB0_2:                                ; =>This Inner Loop Header: Depth=1
	s_load_dwordx2 s[18:19], s[16:17], 0x0
                                        ; implicit-def: $vgpr8_vgpr9
	s_waitcnt lgkmcnt(0)
	v_or_b32_e32 v5, s19, v7
	v_cmp_ne_u64_e32 vcc, 0, v[4:5]
	s_and_saveexec_b64 s[2:3], vcc
	s_xor_b64 s[20:21], exec, s[2:3]
	s_cbranch_execz .LBB0_4
; %bb.3:                                ;   in Loop: Header=BB0_2 Depth=1
	v_cvt_f32_u32_e32 v1, s18
	v_cvt_f32_u32_e32 v5, s19
	s_sub_u32 s2, 0, s18
	s_subb_u32 s3, 0, s19
	v_fmac_f32_e32 v1, 0x4f800000, v5
	v_rcp_f32_e32 v1, v1
	s_nop 0
	v_mul_f32_e32 v1, 0x5f7ffffc, v1
	v_mul_f32_e32 v5, 0x2f800000, v1
	v_trunc_f32_e32 v5, v5
	v_fmac_f32_e32 v1, 0xcf800000, v5
	v_cvt_u32_f32_e32 v5, v5
	v_cvt_u32_f32_e32 v1, v1
	v_mul_lo_u32 v8, s2, v5
	v_mul_hi_u32 v10, s2, v1
	v_mul_lo_u32 v9, s3, v1
	v_add_u32_e32 v10, v10, v8
	v_mul_lo_u32 v12, s2, v1
	v_add_u32_e32 v13, v10, v9
	v_mul_hi_u32 v8, v1, v12
	v_mul_hi_u32 v11, v1, v13
	v_mul_lo_u32 v10, v1, v13
	v_mov_b32_e32 v9, v4
	v_lshl_add_u64 v[8:9], v[8:9], 0, v[10:11]
	v_mul_hi_u32 v11, v5, v12
	v_mul_lo_u32 v12, v5, v12
	v_add_co_u32_e32 v8, vcc, v8, v12
	v_mul_hi_u32 v10, v5, v13
	s_nop 0
	v_addc_co_u32_e32 v8, vcc, v9, v11, vcc
	v_mov_b32_e32 v9, v4
	s_nop 0
	v_addc_co_u32_e32 v11, vcc, 0, v10, vcc
	v_mul_lo_u32 v10, v5, v13
	v_lshl_add_u64 v[8:9], v[8:9], 0, v[10:11]
	v_add_co_u32_e32 v1, vcc, v1, v8
	v_mul_lo_u32 v10, s2, v1
	s_nop 0
	v_addc_co_u32_e32 v5, vcc, v5, v9, vcc
	v_mul_lo_u32 v8, s2, v5
	v_mul_hi_u32 v9, s2, v1
	v_add_u32_e32 v8, v9, v8
	v_mul_lo_u32 v9, s3, v1
	v_add_u32_e32 v12, v8, v9
	v_mul_hi_u32 v14, v5, v10
	v_mul_lo_u32 v15, v5, v10
	v_mul_hi_u32 v9, v1, v12
	v_mul_lo_u32 v8, v1, v12
	v_mul_hi_u32 v10, v1, v10
	v_mov_b32_e32 v11, v4
	v_lshl_add_u64 v[8:9], v[10:11], 0, v[8:9]
	v_add_co_u32_e32 v8, vcc, v8, v15
	v_mul_hi_u32 v13, v5, v12
	s_nop 0
	v_addc_co_u32_e32 v8, vcc, v9, v14, vcc
	v_mul_lo_u32 v10, v5, v12
	s_nop 0
	v_addc_co_u32_e32 v11, vcc, 0, v13, vcc
	v_mov_b32_e32 v9, v4
	v_lshl_add_u64 v[8:9], v[8:9], 0, v[10:11]
	v_add_co_u32_e32 v1, vcc, v1, v8
	v_mul_hi_u32 v10, v6, v1
	s_nop 0
	v_addc_co_u32_e32 v5, vcc, v5, v9, vcc
	v_mad_u64_u32 v[8:9], s[2:3], v6, v5, 0
	v_mov_b32_e32 v11, v4
	v_lshl_add_u64 v[8:9], v[10:11], 0, v[8:9]
	v_mad_u64_u32 v[12:13], s[2:3], v7, v1, 0
	v_add_co_u32_e32 v1, vcc, v8, v12
	v_mad_u64_u32 v[10:11], s[2:3], v7, v5, 0
	s_nop 0
	v_addc_co_u32_e32 v8, vcc, v9, v13, vcc
	v_mov_b32_e32 v9, v4
	s_nop 0
	v_addc_co_u32_e32 v11, vcc, 0, v11, vcc
	v_lshl_add_u64 v[8:9], v[8:9], 0, v[10:11]
	v_mul_lo_u32 v1, s19, v8
	v_mul_lo_u32 v5, s18, v9
	v_mad_u64_u32 v[10:11], s[2:3], s18, v8, 0
	v_add3_u32 v1, v11, v5, v1
	v_sub_u32_e32 v5, v7, v1
	v_mov_b32_e32 v11, s19
	v_sub_co_u32_e32 v14, vcc, v6, v10
	v_lshl_add_u64 v[12:13], v[8:9], 0, 1
	s_nop 0
	v_subb_co_u32_e64 v5, s[2:3], v5, v11, vcc
	v_subrev_co_u32_e64 v10, s[2:3], s18, v14
	v_subb_co_u32_e32 v1, vcc, v7, v1, vcc
	s_nop 0
	v_subbrev_co_u32_e64 v5, s[2:3], 0, v5, s[2:3]
	v_cmp_le_u32_e64 s[2:3], s19, v5
	v_cmp_le_u32_e32 vcc, s19, v1
	s_nop 0
	v_cndmask_b32_e64 v11, 0, -1, s[2:3]
	v_cmp_le_u32_e64 s[2:3], s18, v10
	s_nop 1
	v_cndmask_b32_e64 v10, 0, -1, s[2:3]
	v_cmp_eq_u32_e64 s[2:3], s19, v5
	s_nop 1
	v_cndmask_b32_e64 v5, v11, v10, s[2:3]
	v_lshl_add_u64 v[10:11], v[8:9], 0, 2
	v_cmp_ne_u32_e64 s[2:3], 0, v5
	s_nop 1
	v_cndmask_b32_e64 v5, v13, v11, s[2:3]
	v_cndmask_b32_e64 v11, 0, -1, vcc
	v_cmp_le_u32_e32 vcc, s18, v14
	s_nop 1
	v_cndmask_b32_e64 v13, 0, -1, vcc
	v_cmp_eq_u32_e32 vcc, s19, v1
	s_nop 1
	v_cndmask_b32_e32 v1, v11, v13, vcc
	v_cmp_ne_u32_e32 vcc, 0, v1
	v_cndmask_b32_e64 v1, v12, v10, s[2:3]
	s_nop 0
	v_cndmask_b32_e32 v9, v9, v5, vcc
	v_cndmask_b32_e32 v8, v8, v1, vcc
.LBB0_4:                                ;   in Loop: Header=BB0_2 Depth=1
	s_andn2_saveexec_b64 s[2:3], s[20:21]
	s_cbranch_execz .LBB0_6
; %bb.5:                                ;   in Loop: Header=BB0_2 Depth=1
	v_cvt_f32_u32_e32 v1, s18
	s_sub_i32 s20, 0, s18
	v_rcp_iflag_f32_e32 v1, v1
	s_nop 0
	v_mul_f32_e32 v1, 0x4f7ffffe, v1
	v_cvt_u32_f32_e32 v1, v1
	v_mul_lo_u32 v5, s20, v1
	v_mul_hi_u32 v5, v1, v5
	v_add_u32_e32 v1, v1, v5
	v_mul_hi_u32 v1, v6, v1
	v_mul_lo_u32 v5, v1, s18
	v_sub_u32_e32 v5, v6, v5
	v_add_u32_e32 v8, 1, v1
	v_subrev_u32_e32 v9, s18, v5
	v_cmp_le_u32_e32 vcc, s18, v5
	s_nop 1
	v_cndmask_b32_e32 v5, v5, v9, vcc
	v_cndmask_b32_e32 v1, v1, v8, vcc
	v_add_u32_e32 v8, 1, v1
	v_cmp_le_u32_e32 vcc, s18, v5
	v_mov_b32_e32 v9, v4
	s_nop 0
	v_cndmask_b32_e32 v8, v1, v8, vcc
.LBB0_6:                                ;   in Loop: Header=BB0_2 Depth=1
	s_or_b64 exec, exec, s[2:3]
	v_mad_u64_u32 v[10:11], s[2:3], v8, s18, 0
	s_load_dwordx2 s[2:3], s[12:13], 0x0
	v_mul_lo_u32 v1, v9, s18
	v_mul_lo_u32 v5, v8, s19
	v_add3_u32 v1, v11, v5, v1
	v_sub_co_u32_e32 v5, vcc, v6, v10
	s_add_u32 s14, s14, 1
	s_nop 0
	v_subb_co_u32_e32 v1, vcc, v7, v1, vcc
	s_addc_u32 s15, s15, 0
	s_waitcnt lgkmcnt(0)
	v_mul_lo_u32 v1, s2, v1
	v_mul_lo_u32 v6, s3, v5
	v_mad_u64_u32 v[2:3], s[2:3], s2, v5, v[2:3]
	s_add_u32 s12, s12, 8
	v_add3_u32 v3, v6, v3, v1
	s_addc_u32 s13, s13, 0
	v_mov_b64_e32 v[6:7], s[6:7]
	s_add_u32 s16, s16, 8
	v_cmp_ge_u64_e32 vcc, s[14:15], v[6:7]
	s_addc_u32 s17, s17, 0
	s_cbranch_vccnz .LBB0_9
; %bb.7:                                ;   in Loop: Header=BB0_2 Depth=1
	v_mov_b64_e32 v[6:7], v[8:9]
	s_branch .LBB0_2
.LBB0_8:
	v_mov_b64_e32 v[8:9], v[6:7]
.LBB0_9:
	s_lshl_b64 s[2:3], s[6:7], 3
	s_add_u32 s2, s10, s2
	s_addc_u32 s3, s11, s3
	s_load_dwordx2 s[6:7], s[2:3], 0x0
	s_load_dwordx2 s[10:11], s[0:1], 0x20
	s_mov_b32 s2, 0x3291620
                                        ; implicit-def: $vgpr66_vgpr67
                                        ; implicit-def: $vgpr68_vgpr69
                                        ; implicit-def: $vgpr72_vgpr73
                                        ; implicit-def: $vgpr64
                                        ; implicit-def: $vgpr80
                                        ; implicit-def: $vgpr78
                                        ; implicit-def: $vgpr76
                                        ; implicit-def: $vgpr74
                                        ; implicit-def: $vgpr70
	s_waitcnt lgkmcnt(0)
	v_mul_lo_u32 v1, s6, v9
	v_mul_lo_u32 v4, s7, v8
	v_mad_u64_u32 v[2:3], s[0:1], s6, v8, v[2:3]
	v_add3_u32 v3, v4, v3, v1
	v_mul_hi_u32 v1, v0, s2
	v_mul_u32_u24_e32 v1, 0x51, v1
	v_cmp_gt_u64_e64 s[0:1], s[10:11], v[8:9]
	v_cmp_le_u64_e32 vcc, s[10:11], v[8:9]
	v_sub_u32_e32 v60, v0, v1
	s_and_saveexec_b64 s[2:3], vcc
	s_xor_b64 s[2:3], exec, s[2:3]
	s_cbranch_execz .LBB0_11
; %bb.10:
	v_add_u32_e32 v73, 0x195, v60
	v_add_u32_e32 v69, 0x237, v60
	;; [unrolled: 1-line block ×9, first 2 shown]
	v_mov_b32_e32 v76, v73
	v_mov_b32_e32 v74, v69
	;; [unrolled: 1-line block ×3, first 2 shown]
.LBB0_11:
	s_or_saveexec_b64 s[2:3], s[2:3]
	v_lshl_add_u64 v[62:63], v[2:3], 3, s[8:9]
	s_xor_b64 exec, exec, s[2:3]
	s_cbranch_execz .LBB0_13
; %bb.12:
	v_mov_b32_e32 v61, 0
	v_add_u32_e32 v72, 0x144, v60
	v_mov_b32_e32 v10, v72
	v_mov_b32_e32 v11, v61
	v_add_u32_e32 v73, 0x195, v60
	v_add_u32_e32 v69, 0x237, v60
	;; [unrolled: 1-line block ×3, first 2 shown]
	v_lshl_add_u64 v[0:1], v[60:61], 3, v[62:63]
	v_lshl_add_u64 v[10:11], v[10:11], 3, v[62:63]
	v_mov_b32_e32 v12, v73
	v_mov_b32_e32 v13, v61
	;; [unrolled: 1-line block ×6, first 2 shown]
	global_load_dwordx2 v[2:3], v[0:1], off
	global_load_dwordx2 v[4:5], v[0:1], off offset:648
	global_load_dwordx2 v[6:7], v[0:1], off offset:1296
	;; [unrolled: 1-line block ×3, first 2 shown]
	v_lshl_add_u64 v[12:13], v[12:13], 3, v[62:63]
	v_lshl_add_u64 v[14:15], v[14:15], 3, v[62:63]
	;; [unrolled: 1-line block ×3, first 2 shown]
	global_load_dwordx2 v[26:27], v[10:11], off
	global_load_dwordx2 v[28:29], v[12:13], off
	;; [unrolled: 1-line block ×3, first 2 shown]
	s_movk_i32 s6, 0x1000
	global_load_dwordx2 v[12:13], v[16:17], off
	v_add_co_u32_e32 v22, vcc, s6, v0
	s_movk_i32 s7, 0x2000
	s_nop 0
	v_addc_co_u32_e32 v23, vcc, 0, v1, vcc
	v_add_u32_e32 v66, 0x288, v60
	v_add_co_u32_e32 v24, vcc, s7, v0
	v_add_u32_e32 v67, 0x2d9, v60
	s_movk_i32 s8, 0x3000
	v_mov_b32_e32 v18, v66
	v_mov_b32_e32 v19, v61
	v_addc_co_u32_e32 v25, vcc, 0, v1, vcc
	v_mov_b32_e32 v20, v67
	v_mov_b32_e32 v21, v61
	v_lshl_add_u64 v[18:19], v[18:19], 3, v[62:63]
	v_add_co_u32_e32 v10, vcc, s8, v0
	v_lshl_add_u64 v[20:21], v[20:21], 3, v[62:63]
	s_nop 0
	v_addc_co_u32_e32 v11, vcc, 0, v1, vcc
	global_load_dwordx2 v[14:15], v[18:19], off
	global_load_dwordx2 v[16:17], v[20:21], off
	global_load_dwordx2 v[32:33], v[22:23], off offset:2384
	global_load_dwordx2 v[34:35], v[22:23], off offset:3032
	global_load_dwordx2 v[36:37], v[22:23], off offset:3680
	global_load_dwordx2 v[38:39], v[24:25], off offset:232
	global_load_dwordx2 v[40:41], v[24:25], off offset:880
	global_load_dwordx2 v[42:43], v[24:25], off offset:1528
	global_load_dwordx2 v[44:45], v[24:25], off offset:2176
	global_load_dwordx2 v[46:47], v[24:25], off offset:2824
	global_load_dwordx2 v[48:49], v[24:25], off offset:3472
	global_load_dwordx2 v[50:51], v[10:11], off offset:24
	global_load_dwordx2 v[52:53], v[10:11], off offset:672
	global_load_dwordx2 v[54:55], v[10:11], off offset:1320
	global_load_dwordx2 v[56:57], v[10:11], off offset:1968
                                        ; kill: killed $vgpr22 killed $vgpr23
                                        ; kill: killed $vgpr20_vgpr21
                                        ; kill: killed $vgpr24 killed $vgpr25
                                        ; kill: killed $vgpr18_vgpr19
	global_load_dwordx2 v[18:19], v[10:11], off offset:2616
	v_add_co_u32_e32 v0, vcc, 0x4000, v0
	v_add_u32_e32 v64, 0x51, v60
	s_nop 0
	v_addc_co_u32_e32 v1, vcc, 0, v1, vcc
	global_load_dwordx2 v[20:21], v[10:11], off offset:3264
	global_load_dwordx2 v[22:23], v[10:11], off offset:3912
	global_load_dwordx2 v[24:25], v[0:1], off offset:464
	global_load_dwordx2 v[58:59], v[0:1], off offset:1112
	global_load_dwordx2 v[70:71], v[0:1], off offset:1760
	global_load_dwordx2 v[74:75], v[0:1], off offset:2408
	v_lshl_add_u32 v0, v60, 3, 0
	v_lshl_add_u32 v1, v72, 3, 0
	;; [unrolled: 1-line block ×4, first 2 shown]
	v_add_u32_e32 v80, 0xa2, v60
	v_add_u32_e32 v78, 0xf3, v60
	v_mov_b32_e32 v76, v73
	s_waitcnt vmcnt(28)
	ds_write2_b64 v0, v[2:3], v[4:5] offset1:81
	s_waitcnt vmcnt(26)
	ds_write2_b64 v0, v[6:7], v[8:9] offset0:162 offset1:243
	s_waitcnt vmcnt(25)
	ds_write_b64 v1, v[26:27]
	s_waitcnt vmcnt(24)
	ds_write_b64 v10, v[28:29]
	;; [unrolled: 2-line block ×3, first 2 shown]
	v_lshl_add_u32 v1, v69, 3, 0
	s_waitcnt vmcnt(22)
	ds_write_b64 v1, v[12:13]
	v_lshl_add_u32 v1, v66, 3, 0
	s_waitcnt vmcnt(21)
	ds_write_b64 v1, v[14:15]
	v_lshl_add_u32 v1, v67, 3, 0
	s_waitcnt vmcnt(20)
	ds_write_b64 v1, v[16:17]
	v_add_u32_e32 v1, 0x1800, v0
	s_waitcnt vmcnt(18)
	ds_write2_b64 v1, v[32:33], v[34:35] offset0:42 offset1:123
	v_add_u32_e32 v1, 0x1c00, v0
	s_waitcnt vmcnt(16)
	ds_write2_b64 v1, v[36:37], v[38:39] offset0:76 offset1:157
	;; [unrolled: 3-line block ×8, first 2 shown]
	v_add_u32_e32 v1, 0x4000, v0
	v_add_u32_e32 v0, 0x4400, v0
	s_waitcnt vmcnt(2)
	ds_write2_b64 v1, v[24:25], v[58:59] offset0:58 offset1:139
	s_waitcnt vmcnt(0)
	ds_write2_b64 v0, v[70:71], v[74:75] offset0:92 offset1:173
	v_mov_b32_e32 v70, v67
	v_mov_b32_e32 v74, v69
.LBB0_13:
	s_or_b64 exec, exec, s[2:3]
	v_lshlrev_b32_e32 v61, 3, v60
	v_add_u32_e32 v82, 0, v61
	v_add_u32_e32 v4, 0xc00, v82
	;; [unrolled: 1-line block ×5, first 2 shown]
	s_waitcnt lgkmcnt(0)
	s_barrier
	ds_read2_b64 v[8:11], v4 offset0:102 offset1:183
	ds_read2_b64 v[20:23], v71 offset0:76 offset1:157
	ds_read2_b64 v[12:15], v79 offset0:50 offset1:131
	ds_read2_b64 v[16:19], v75 offset0:152 offset1:233
	ds_read2_b64 v[0:3], v82 offset1:81
	v_add_u32_e32 v28, 0x1000, v82
	s_mov_b32 s6, 0x3f737871
	s_waitcnt lgkmcnt(2)
	v_pk_add_f32 v[4:5], v[20:21], v[12:13]
	s_waitcnt lgkmcnt(1)
	v_pk_add_f32 v[88:89], v[8:9], v[16:17] neg_lo:[0,1] neg_hi:[0,1]
	v_add_u32_e32 v77, 0x2000, v82
	v_add_u32_e32 v65, 0x3000, v82
	s_waitcnt lgkmcnt(0)
	v_pk_fma_f32 v[4:5], v[4:5], 0.5, v[0:1] op_sel_hi:[1,0,1] neg_lo:[1,0,0] neg_hi:[1,0,0]
	v_pk_mul_f32 v[6:7], v[88:89], s[6:7] op_sel_hi:[1,0]
	v_pk_add_f32 v[90:91], v[20:21], v[12:13] neg_lo:[0,1] neg_hi:[0,1]
	s_mov_b32 s2, 0x3f167918
	v_pk_add_f32 v[24:25], v[8:9], v[20:21] neg_lo:[0,1] neg_hi:[0,1]
	v_pk_add_f32 v[26:27], v[16:17], v[12:13] neg_lo:[0,1] neg_hi:[0,1]
	v_add_u32_e32 v81, 0x4000, v82
	ds_read2_b64 v[28:31], v28 offset0:136 offset1:217
	ds_read2_b64 v[32:35], v77 offset0:110 offset1:191
	;; [unrolled: 1-line block ×4, first 2 shown]
	v_pk_add_f32 v[92:93], v[24:25], v[26:27]
	v_pk_add_f32 v[24:25], v[4:5], v[6:7] op_sel:[0,1] op_sel_hi:[1,0] neg_lo:[0,1] neg_hi:[0,1]
	v_pk_add_f32 v[4:5], v[4:5], v[6:7] op_sel:[0,1] op_sel_hi:[1,0]
	v_pk_mul_f32 v[6:7], v[90:91], s[2:3] op_sel_hi:[1,0]
	s_waitcnt lgkmcnt(0)
	v_pk_add_f32 v[26:27], v[42:43], v[38:39] neg_lo:[0,1] neg_hi:[0,1]
	v_pk_add_f32 v[94:95], v[4:5], v[6:7] op_sel:[0,1] op_sel_hi:[1,0]
	v_pk_add_f32 v[86:87], v[24:25], v[6:7] op_sel:[0,1] op_sel_hi:[1,0] neg_lo:[0,1] neg_hi:[0,1]
	ds_read2_b64 v[4:7], v82 offset0:162 offset1:243
	v_pk_add_f32 v[24:25], v[30:31], v[34:35] neg_lo:[0,1] neg_hi:[0,1]
	v_pk_add_f32 v[98:99], v[30:31], v[42:43] neg_lo:[0,1] neg_hi:[0,1]
	v_pk_add_f32 v[96:97], v[24:25], v[26:27]
	v_pk_add_f32 v[24:25], v[34:35], v[38:39]
	v_pk_mul_f32 v[26:27], v[98:99], s[6:7] op_sel_hi:[1,0]
	s_waitcnt lgkmcnt(0)
	v_pk_fma_f32 v[24:25], v[24:25], 0.5, v[6:7] op_sel_hi:[1,0,1] neg_lo:[1,0,0] neg_hi:[1,0,0]
	v_pk_add_f32 v[100:101], v[34:35], v[38:39] neg_lo:[0,1] neg_hi:[0,1]
	v_pk_add_f32 v[44:45], v[24:25], v[26:27] op_sel:[0,1] op_sel_hi:[1,0]
	v_pk_add_f32 v[24:25], v[24:25], v[26:27] op_sel:[0,1] op_sel_hi:[1,0] neg_lo:[0,1] neg_hi:[0,1]
	v_pk_mul_f32 v[26:27], v[100:101], s[2:3] op_sel_hi:[1,0]
	s_mov_b32 s8, 0x3e9e377a
	v_pk_add_f32 v[44:45], v[26:27], v[44:45] op_sel:[1,0] op_sel_hi:[0,1]
	v_pk_add_f32 v[102:103], v[24:25], v[26:27] op_sel:[0,1] op_sel_hi:[1,0] neg_lo:[0,1] neg_hi:[0,1]
	v_mov_b32_e32 v24, v86
	v_mov_b32_e32 v25, v95
	v_pk_fma_f32 v[104:105], v[92:93], s[8:9], v[24:25] op_sel_hi:[1,0,1]
	v_pk_fma_f32 v[106:107], v[96:97], s[8:9], v[44:45] op_sel_hi:[1,0,1]
	s_mov_b32 s9, s2
	v_mov_b32_e32 v44, v102
	v_pk_fma_f32 v[24:25], v[96:97], s[8:9], v[44:45] op_sel_hi:[1,0,1]
	s_mov_b32 s10, 0x3f4f1bbd
	v_pk_mul_f32 v[26:27], v[24:25], s[2:3] op_sel_hi:[1,0]
	s_movk_i32 s3, 0x48
	v_pk_fma_f32 v[108:109], v[24:25], s[10:11], v[26:27] op_sel:[0,0,1] op_sel_hi:[1,0,0] neg_lo:[0,0,1] neg_hi:[0,0,1]
	v_pk_fma_f32 v[24:25], v[24:25], s[10:11], v[26:27] op_sel:[0,0,1] op_sel_hi:[1,0,0]
	v_mad_u32_u24 v118, v60, s3, v82
	v_mov_b32_e32 v109, v25
	v_pk_add_f32 v[24:25], v[0:1], v[8:9]
	v_pk_add_f32 v[116:117], v[104:105], v[108:109]
	;; [unrolled: 1-line block ×3, first 2 shown]
	v_add_u32_e32 v83, 0x1800, v82
	v_pk_add_f32 v[24:25], v[24:25], v[12:13]
	v_add_u32_e32 v85, 0x2800, v82
	v_pk_add_f32 v[110:111], v[24:25], v[16:17]
	v_pk_add_f32 v[24:25], v[6:7], v[30:31]
	v_add_u32_e32 v84, 0x3400, v82
	v_pk_add_f32 v[24:25], v[24:25], v[34:35]
	v_add_u32_e32 v86, 0x4400, v82
	v_pk_add_f32 v[24:25], v[24:25], v[38:39]
	v_pk_add_f32 v[12:13], v[12:13], v[16:17] neg_lo:[0,1] neg_hi:[0,1]
	v_pk_add_f32 v[112:113], v[24:25], v[42:43]
	v_add_u32_e32 v24, 0x800, v82
	v_pk_add_f32 v[114:115], v[110:111], v[112:113]
	ds_read2_b64 v[24:27], v24 offset0:68 offset1:149
	ds_read2_b64 v[56:59], v83 offset0:42 offset1:123
	;; [unrolled: 1-line block ×5, first 2 shown]
	s_waitcnt lgkmcnt(0)
	s_barrier
	ds_write2_b64 v118, v[114:115], v[116:117] offset1:1
	v_mov_b32_e32 v114, v34
	v_mov_b32_e32 v115, v38
	;; [unrolled: 1-line block ×4, first 2 shown]
	v_pk_add_f32 v[114:115], v[114:115], v[116:117] neg_lo:[0,1] neg_hi:[0,1]
	v_mov_b32_e32 v38, v31
	v_mov_b32_e32 v34, v115
	v_pk_add_f32 v[114:115], v[114:115], v[34:35]
	v_mov_b32_e32 v34, v35
	v_mov_b32_e32 v35, v39
	;; [unrolled: 1-line block ×3, first 2 shown]
	v_pk_add_f32 v[34:35], v[34:35], v[38:39] neg_lo:[0,1] neg_hi:[0,1]
	v_pk_add_f32 v[30:31], v[30:31], v[42:43]
	v_mov_b32_e32 v38, v35
	v_pk_add_f32 v[34:35], v[34:35], v[38:39]
	v_fma_f32 v38, -0.5, v30, v6
	v_fma_f32 v31, -0.5, v31, v7
	v_pk_add_f32 v[6:7], v[20:21], v[8:9] neg_lo:[0,1] neg_hi:[0,1]
	v_pk_add_f32 v[8:9], v[8:9], v[16:17]
	v_mov_b32_e32 v115, v99
	v_pk_fma_f32 v[0:1], v[8:9], 0.5, v[0:1] op_sel_hi:[1,0,1] neg_lo:[1,0,0] neg_hi:[1,0,0]
	v_pk_mul_f32 v[8:9], v[90:91], s[6:7] op_sel_hi:[1,0]
	v_pk_add_f32 v[6:7], v[6:7], v[12:13]
	v_pk_add_f32 v[12:13], v[0:1], v[8:9] op_sel:[0,1] op_sel_hi:[1,0]
	v_pk_add_f32 v[0:1], v[0:1], v[8:9] op_sel:[0,1] op_sel_hi:[1,0] neg_lo:[0,1] neg_hi:[0,1]
	v_pk_mul_f32 v[8:9], v[88:89], s[2:3] op_sel_hi:[1,0]
	v_mov_b32_e32 v35, v98
	v_fmamk_f32 v30, v101, 0x3f737871, v38
	v_fmac_f32_e32 v38, 0xbf737871, v101
	v_pk_add_f32 v[0:1], v[0:1], v[8:9] op_sel:[0,1] op_sel_hi:[1,0]
	v_pk_add_f32 v[8:9], v[12:13], v[8:9] op_sel:[0,1] op_sel_hi:[1,0] neg_lo:[0,1] neg_hi:[0,1]
	v_pk_mul_f32 v[12:13], v[114:115], s[8:9]
	v_fmamk_f32 v39, v100, 0xbf737871, v31
	v_fmac_f32_e32 v31, 0x3f737871, v100
	v_sub_f32_e32 v30, v30, v13
	v_pk_mul_f32 v[16:17], v[34:35], s[8:9]
	v_add_f32_e32 v13, v13, v38
	v_add_f32_e32 v20, v17, v39
	;; [unrolled: 1-line block ×4, first 2 shown]
	v_sub_f32_e32 v13, v31, v17
	s_mov_b32 s7, s8
	v_add_f32_e32 v20, v16, v20
	v_add_f32_e32 v16, v16, v13
	s_mov_b32 s12, s8
	s_mov_b32 s13, s6
	v_pk_mul_f32 v[20:21], v[20:21], s[6:7] op_sel_hi:[0,1]
	s_mov_b32 s14, 0xbe9e377a
	s_mov_b32 s15, s6
	v_pk_mul_f32 v[16:17], v[16:17], s[6:7] op_sel_hi:[0,1]
	v_pk_fma_f32 v[34:35], v[30:31], s[12:13], v[20:21] neg_lo:[0,0,1] neg_hi:[0,0,1]
	v_pk_fma_f32 v[20:21], v[30:31], s[12:13], v[20:21] op_sel_hi:[0,1,1]
	v_pk_fma_f32 v[12:13], v[12:13], s[14:15], v[16:17] op_sel_hi:[0,1,1] neg_lo:[0,0,1] neg_hi:[0,0,1]
	v_mov_b32_e32 v16, v8
	v_mov_b32_e32 v17, v1
	;; [unrolled: 1-line block ×4, first 2 shown]
	v_pk_fma_f32 v[8:9], v[6:7], s[8:9], v[16:17] op_sel_hi:[1,0,1]
	v_pk_fma_f32 v[0:1], v[6:7], s[8:9], v[0:1] op_sel_hi:[1,0,1]
	v_pk_add_f32 v[6:7], v[8:9], v[34:35]
	v_pk_add_f32 v[16:17], v[0:1], v[12:13]
	ds_write2_b64 v118, v[6:7], v[16:17] offset0:2 offset1:3
	v_pk_fma_f32 v[6:7], v[96:97], s[8:9], v[102:103] op_sel_hi:[1,0,1]
	s_mov_b32 s3, s10
	v_mov_b32_e32 v95, v87
	s_mov_b32 s16, 0xbf4f1bbd
	s_mov_b32 s17, s2
	v_pk_mul_f32 v[6:7], v[6:7], s[2:3] op_sel:[1,0]
	v_pk_fma_f32 v[16:17], v[92:93], s[8:9], v[94:95] op_sel_hi:[1,0,1]
	v_pk_fma_f32 v[6:7], v[106:107], s[16:17], v[6:7] op_sel_hi:[0,1,1] neg_lo:[0,0,1] neg_hi:[0,0,1]
	v_pk_add_f32 v[30:31], v[16:17], v[6:7]
	v_pk_add_f32 v[0:1], v[0:1], v[12:13] neg_lo:[0,1] neg_hi:[0,1]
	v_pk_add_f32 v[6:7], v[16:17], v[6:7] neg_lo:[0,1] neg_hi:[0,1]
	ds_write2_b64 v118, v[0:1], v[6:7] offset0:8 offset1:9
	v_pk_add_f32 v[0:1], v[4:5], v[28:29]
	v_pk_add_f32 v[20:21], v[110:111], v[112:113] neg_lo:[0,1] neg_hi:[0,1]
	v_pk_add_f32 v[6:7], v[0:1], v[32:33]
	ds_write2_b64 v118, v[30:31], v[20:21] offset0:4 offset1:5
	v_pk_add_f32 v[20:21], v[104:105], v[108:109] neg_lo:[0,1] neg_hi:[0,1]
	v_pk_add_f32 v[8:9], v[8:9], v[34:35] neg_lo:[0,1] neg_hi:[0,1]
	v_pk_add_f32 v[6:7], v[6:7], v[36:37]
	v_pk_add_f32 v[34:35], v[2:3], v[10:11]
	;; [unrolled: 1-line block ×4, first 2 shown]
	ds_write2_b64 v118, v[20:21], v[8:9] offset0:6 offset1:7
	v_pk_add_f32 v[8:9], v[32:33], v[36:37]
	v_pk_add_f32 v[0:1], v[32:33], v[36:37] neg_lo:[0,1] neg_hi:[0,1]
	v_pk_add_f32 v[12:13], v[28:29], v[32:33] neg_lo:[0,1] neg_hi:[0,1]
	;; [unrolled: 1-line block ×4, first 2 shown]
	v_pk_add_f32 v[28:29], v[28:29], v[40:41]
	v_pk_add_f32 v[30:31], v[40:41], v[36:37] neg_lo:[0,1] neg_hi:[0,1]
	v_pk_add_f32 v[32:33], v[36:37], v[40:41] neg_lo:[0,1] neg_hi:[0,1]
	v_pk_add_f32 v[6:7], v[6:7], v[40:41]
	v_pk_add_f32 v[34:35], v[34:35], v[22:23]
	;; [unrolled: 1-line block ×3, first 2 shown]
	v_pk_add_f32 v[40:41], v[10:11], v[22:23] neg_lo:[0,1] neg_hi:[0,1]
	v_pk_add_f32 v[88:89], v[10:11], v[18:19] neg_lo:[0,1] neg_hi:[0,1]
	;; [unrolled: 1-line block ×3, first 2 shown]
	v_pk_add_f32 v[92:93], v[92:93], v[54:55]
	v_pk_add_f32 v[100:101], v[100:101], v[52:53]
	v_pk_add_f32 v[38:39], v[22:23], v[14:15] neg_lo:[0,1] neg_hi:[0,1]
	v_pk_add_f32 v[34:35], v[34:35], v[14:15]
	v_pk_add_f32 v[92:93], v[92:93], v[50:51]
	;; [unrolled: 1-line block ×4, first 2 shown]
	v_pk_fma_f32 v[36:37], v[36:37], 0.5, v[2:3] op_sel_hi:[1,0,1] neg_lo:[1,0,0] neg_hi:[1,0,0]
	v_pk_mul_f32 v[42:43], v[88:89], s[6:7] op_sel_hi:[1,0]
	v_pk_add_f32 v[22:23], v[22:23], v[10:11] neg_lo:[0,1] neg_hi:[0,1]
	v_pk_add_f32 v[10:11], v[10:11], v[18:19]
	v_pk_add_f32 v[14:15], v[14:15], v[18:19] neg_lo:[0,1] neg_hi:[0,1]
	v_pk_add_f32 v[18:19], v[34:35], v[18:19]
	v_pk_add_f32 v[34:35], v[58:59], v[46:47]
	v_mov_b32_e32 v90, v58
	v_mov_b32_e32 v94, v59
	v_pk_add_f32 v[96:97], v[56:57], v[44:45]
	v_mov_b32_e32 v98, v56
	v_mov_b32_e32 v102, v57
	v_pk_add_f32 v[104:105], v[56:57], v[44:45] neg_lo:[0,1] neg_hi:[0,1]
	v_pk_add_f32 v[56:57], v[56:57], v[52:53] neg_lo:[0,1] neg_hi:[0,1]
	;; [unrolled: 1-line block ×4, first 2 shown]
	v_mov_b32_e32 v108, v54
	v_mov_b32_e32 v110, v55
	;; [unrolled: 1-line block ×4, first 2 shown]
	v_pk_add_f32 v[116:117], v[52:53], v[48:49]
	v_pk_add_f32 v[52:53], v[52:53], v[48:49] neg_lo:[0,1] neg_hi:[0,1]
	v_pk_add_f32 v[118:119], v[54:55], v[50:51]
	v_pk_add_f32 v[54:55], v[54:55], v[50:51] neg_lo:[0,1] neg_hi:[0,1]
	v_mov_b32_e32 v109, v50
	v_mov_b32_e32 v111, v51
	;; [unrolled: 1-line block ×4, first 2 shown]
	v_pk_add_f32 v[48:49], v[44:45], v[48:49] neg_lo:[0,1] neg_hi:[0,1]
	v_pk_add_f32 v[50:51], v[46:47], v[50:51] neg_lo:[0,1] neg_hi:[0,1]
	v_mov_b32_e32 v91, v46
	v_pk_add_f32 v[92:93], v[92:93], v[46:47]
	v_mov_b32_e32 v95, v47
	v_mov_b32_e32 v99, v44
	v_pk_add_f32 v[46:47], v[100:101], v[44:45]
	v_mov_b32_e32 v103, v45
	v_pk_add_f32 v[44:45], v[36:37], v[42:43] op_sel:[0,1] op_sel_hi:[1,0] neg_lo:[0,1] neg_hi:[0,1]
	v_pk_add_f32 v[36:37], v[36:37], v[42:43] op_sel:[0,1] op_sel_hi:[1,0]
	v_pk_mul_f32 v[42:43], v[38:39], s[2:3] op_sel_hi:[1,0]
	v_pk_add_f32 v[48:49], v[56:57], v[48:49]
	v_pk_add_f32 v[36:37], v[36:37], v[42:43] op_sel:[0,1] op_sel_hi:[1,0]
	v_pk_add_f32 v[44:45], v[44:45], v[42:43] op_sel:[0,1] op_sel_hi:[1,0] neg_lo:[0,1] neg_hi:[0,1]
	v_pk_fma_f32 v[42:43], v[116:117], 0.5, v[24:25] op_sel_hi:[1,0,1] neg_lo:[1,0,0] neg_hi:[1,0,0]
	v_pk_mul_f32 v[56:57], v[104:105], s[6:7] op_sel_hi:[1,0]
	v_pk_fma_f32 v[2:3], v[10:11], 0.5, v[2:3] op_sel_hi:[1,0,1] neg_lo:[1,0,0] neg_hi:[1,0,0]
	v_pk_add_f32 v[100:101], v[42:43], v[56:57] op_sel:[0,1] op_sel_hi:[1,0]
	v_pk_add_f32 v[42:43], v[42:43], v[56:57] op_sel:[0,1] op_sel_hi:[1,0] neg_lo:[0,1] neg_hi:[0,1]
	v_pk_mul_f32 v[56:57], v[52:53], s[2:3] op_sel_hi:[1,0]
	v_pk_add_f32 v[10:11], v[112:113], v[98:99] neg_lo:[0,1] neg_hi:[0,1]
	v_pk_add_f32 v[100:101], v[56:57], v[100:101] op_sel:[1,0] op_sel_hi:[0,1]
	v_pk_add_f32 v[56:57], v[42:43], v[56:57] op_sel:[0,1] op_sel_hi:[1,0] neg_lo:[0,1] neg_hi:[0,1]
	v_pk_fma_f32 v[116:117], v[48:49], s[8:9], v[100:101] op_sel_hi:[1,0,1]
	v_mov_b32_e32 v100, v56
	v_pk_fma_f32 v[42:43], v[48:49], s[8:9], v[100:101] op_sel_hi:[1,0,1]
	v_pk_add_f32 v[98:99], v[114:115], v[102:103] neg_lo:[0,1] neg_hi:[0,1]
	v_pk_mul_f32 v[100:101], v[42:43], s[2:3] op_sel_hi:[1,0]
	v_pk_add_f32 v[14:15], v[22:23], v[14:15]
	v_pk_fma_f32 v[120:121], v[42:43], s[10:11], v[100:101] op_sel:[0,0,1] op_sel_hi:[1,0,0] neg_lo:[0,0,1] neg_hi:[0,0,1]
	v_pk_fma_f32 v[42:43], v[42:43], s[10:11], v[100:101] op_sel:[0,0,1] op_sel_hi:[1,0,0]
	v_mov_b32_e32 v100, v44
	v_mov_b32_e32 v44, v11
	v_pk_add_f32 v[10:11], v[10:11], v[44:45]
	v_mov_b32_e32 v44, v99
	v_mov_b32_e32 v101, v37
	v_pk_add_f32 v[98:99], v[98:99], v[44:45]
	v_mov_b32_e32 v11, v105
	v_fma_f32 v37, -0.5, v96, v24
	v_pk_mul_f32 v[22:23], v[38:39], s[6:7] op_sel_hi:[1,0]
	v_mov_b32_e32 v121, v43
	v_mov_b32_e32 v99, v104
	v_fma_f32 v43, -0.5, v97, v25
	v_fmamk_f32 v44, v53, 0x3f737871, v37
	v_fmac_f32_e32 v37, 0xbf737871, v53
	v_pk_add_f32 v[24:25], v[2:3], v[22:23] op_sel:[0,1] op_sel_hi:[1,0]
	v_pk_add_f32 v[2:3], v[2:3], v[22:23] op_sel:[0,1] op_sel_hi:[1,0] neg_lo:[0,1] neg_hi:[0,1]
	v_pk_mul_f32 v[22:23], v[88:89], s[2:3] op_sel_hi:[1,0]
	v_pk_mul_f32 v[10:11], v[10:11], s[8:9]
	v_fmamk_f32 v53, v52, 0xbf737871, v43
	v_fmac_f32_e32 v43, 0x3f737871, v52
	v_pk_add_f32 v[2:3], v[2:3], v[22:23] op_sel:[0,1] op_sel_hi:[1,0]
	v_pk_add_f32 v[22:23], v[24:25], v[22:23] op_sel:[0,1] op_sel_hi:[1,0] neg_lo:[0,1] neg_hi:[0,1]
	v_sub_f32_e32 v44, v44, v11
	v_pk_mul_f32 v[24:25], v[98:99], s[8:9]
	v_add_f32_e32 v11, v11, v37
	v_add_f32_e32 v38, v25, v53
	;; [unrolled: 1-line block ×4, first 2 shown]
	v_sub_f32_e32 v11, v43, v25
	v_add_f32_e32 v38, v24, v38
	v_add_f32_e32 v24, v24, v11
	v_pk_mul_f32 v[38:39], v[38:39], s[6:7] op_sel_hi:[0,1]
	v_pk_mul_f32 v[24:25], v[24:25], s[6:7] op_sel_hi:[0,1]
	v_pk_fma_f32 v[52:53], v[44:45], s[12:13], v[38:39] neg_lo:[0,0,1] neg_hi:[0,0,1]
	v_pk_fma_f32 v[38:39], v[44:45], s[12:13], v[38:39] op_sel_hi:[0,1,1]
	v_pk_fma_f32 v[10:11], v[10:11], s[14:15], v[24:25] op_sel_hi:[0,1,1] neg_lo:[0,0,1] neg_hi:[0,0,1]
	v_mov_b32_e32 v24, v22
	v_mov_b32_e32 v25, v3
	;; [unrolled: 1-line block ×3, first 2 shown]
	v_mul_i32_i24_e32 v42, 10, v64
	v_mov_b32_e32 v53, v39
	v_pk_fma_f32 v[22:23], v[14:15], s[8:9], v[24:25] op_sel_hi:[1,0,1]
	v_pk_fma_f32 v[2:3], v[14:15], s[8:9], v[2:3] op_sel_hi:[1,0,1]
	v_lshl_add_u32 v42, v42, 3, 0
	v_pk_add_f32 v[14:15], v[22:23], v[52:53]
	v_pk_add_f32 v[24:25], v[2:3], v[10:11]
	ds_write2_b64 v42, v[14:15], v[24:25] offset0:2 offset1:3
	v_pk_fma_f32 v[14:15], v[48:49], s[8:9], v[56:57] op_sel_hi:[1,0,1]
	v_mov_b32_e32 v37, v45
	v_pk_mul_f32 v[14:15], v[14:15], s[2:3] op_sel:[1,0]
	v_pk_fma_f32 v[24:25], v[40:41], s[8:9], v[36:37] op_sel_hi:[1,0,1]
	v_pk_fma_f32 v[14:15], v[116:117], s[16:17], v[14:15] op_sel_hi:[0,1,1] neg_lo:[0,0,1] neg_hi:[0,0,1]
	v_pk_fma_f32 v[100:101], v[40:41], s[8:9], v[100:101] op_sel_hi:[1,0,1]
	v_pk_add_f32 v[122:123], v[18:19], v[46:47]
	v_pk_add_f32 v[18:19], v[18:19], v[46:47] neg_lo:[0,1] neg_hi:[0,1]
	v_pk_add_f32 v[36:37], v[24:25], v[14:15]
	ds_write2_b64 v42, v[36:37], v[18:19] offset0:4 offset1:5
	v_pk_add_f32 v[18:19], v[100:101], v[120:121] neg_lo:[0,1] neg_hi:[0,1]
	v_pk_add_f32 v[22:23], v[22:23], v[52:53] neg_lo:[0,1] neg_hi:[0,1]
	;; [unrolled: 1-line block ×4, first 2 shown]
	ds_write2_b64 v42, v[18:19], v[22:23] offset0:6 offset1:7
	ds_write2_b64 v42, v[2:3], v[10:11] offset0:8 offset1:9
	v_pk_fma_f32 v[2:3], v[118:119], 0.5, v[26:27] op_sel_hi:[1,0,1] neg_lo:[1,0,0] neg_hi:[1,0,0]
	v_pk_add_f32 v[10:11], v[12:13], v[30:31]
	v_pk_fma_f32 v[8:9], v[8:9], 0.5, v[4:5] op_sel_hi:[1,0,1] neg_lo:[1,0,0] neg_hi:[1,0,0]
	v_pk_mul_f32 v[12:13], v[20:21], s[6:7] op_sel_hi:[1,0]
	v_pk_mul_f32 v[18:19], v[106:107], s[6:7] op_sel_hi:[1,0]
	v_pk_add_f32 v[14:15], v[8:9], v[12:13] op_sel:[0,1] op_sel_hi:[1,0] neg_lo:[0,1] neg_hi:[0,1]
	v_pk_add_f32 v[8:9], v[8:9], v[12:13] op_sel:[0,1] op_sel_hi:[1,0]
	v_pk_mul_f32 v[12:13], v[0:1], s[2:3] op_sel_hi:[1,0]
	v_pk_add_f32 v[22:23], v[2:3], v[18:19] op_sel:[0,1] op_sel_hi:[1,0]
	v_pk_add_f32 v[2:3], v[2:3], v[18:19] op_sel:[0,1] op_sel_hi:[1,0] neg_lo:[0,1] neg_hi:[0,1]
	v_pk_mul_f32 v[18:19], v[54:55], s[2:3] op_sel_hi:[1,0]
	v_pk_add_f32 v[8:9], v[8:9], v[12:13] op_sel:[0,1] op_sel_hi:[1,0]
	v_pk_add_f32 v[12:13], v[14:15], v[12:13] op_sel:[0,1] op_sel_hi:[1,0] neg_lo:[0,1] neg_hi:[0,1]
	v_pk_add_f32 v[14:15], v[58:59], v[50:51]
	v_pk_add_f32 v[22:23], v[18:19], v[22:23] op_sel:[1,0] op_sel_hi:[0,1]
	v_pk_add_f32 v[2:3], v[2:3], v[18:19] op_sel:[0,1] op_sel_hi:[1,0] neg_lo:[0,1] neg_hi:[0,1]
	v_pk_fma_f32 v[18:19], v[14:15], s[8:9], v[22:23] op_sel_hi:[1,0,1]
	v_mov_b32_e32 v22, v2
	v_pk_fma_f32 v[22:23], v[14:15], s[8:9], v[22:23] op_sel_hi:[1,0,1]
	v_fma_f32 v34, -0.5, v34, v26
	v_pk_mul_f32 v[24:25], v[22:23], s[2:3] op_sel_hi:[1,0]
	v_fma_f32 v35, -0.5, v35, v27
	v_pk_fma_f32 v[26:27], v[22:23], s[10:11], v[24:25] op_sel:[0,0,1] op_sel_hi:[1,0,0] neg_lo:[0,0,1] neg_hi:[0,0,1]
	v_pk_fma_f32 v[22:23], v[22:23], s[10:11], v[24:25] op_sel:[0,0,1] op_sel_hi:[1,0,0]
	v_pk_add_f32 v[124:125], v[100:101], v[120:121]
	v_mul_i32_i24_e32 v22, 10, v80
	v_mov_b32_e32 v27, v23
	v_lshl_add_u32 v43, v22, 3, 0
	v_mov_b32_e32 v22, v12
	v_mov_b32_e32 v23, v9
	v_pk_fma_f32 v[22:23], v[10:11], s[8:9], v[22:23] op_sel_hi:[1,0,1]
	v_pk_add_f32 v[24:25], v[6:7], v[92:93]
	v_pk_add_f32 v[30:31], v[22:23], v[26:27]
	ds_write2_b64 v42, v[122:123], v[124:125] offset1:1
	ds_write2_b64 v43, v[24:25], v[30:31] offset1:1
	v_pk_add_f32 v[24:25], v[108:109], v[90:91] neg_lo:[0,1] neg_hi:[0,1]
	v_pk_fma_f32 v[4:5], v[28:29], 0.5, v[4:5] op_sel_hi:[1,0,1] neg_lo:[1,0,0] neg_hi:[1,0,0]
	v_mov_b32_e32 v12, v25
	v_pk_add_f32 v[28:29], v[110:111], v[94:95] neg_lo:[0,1] neg_hi:[0,1]
	v_pk_add_f32 v[24:25], v[24:25], v[12:13]
	v_mov_b32_e32 v12, v29
	v_pk_add_f32 v[28:29], v[28:29], v[12:13]
	v_mov_b32_e32 v25, v107
	v_mov_b32_e32 v29, v106
	v_pk_mul_f32 v[0:1], v[0:1], s[6:7] op_sel_hi:[1,0]
	v_fmamk_f32 v12, v54, 0xbf737871, v35
	v_pk_add_f32 v[30:31], v[4:5], v[0:1] op_sel:[0,1] op_sel_hi:[1,0]
	v_pk_add_f32 v[0:1], v[4:5], v[0:1] op_sel:[0,1] op_sel_hi:[1,0] neg_lo:[0,1] neg_hi:[0,1]
	v_pk_mul_f32 v[4:5], v[20:21], s[2:3] op_sel_hi:[1,0]
	v_pk_mul_f32 v[20:21], v[24:25], s[8:9]
	v_pk_mul_f32 v[24:25], v[28:29], s[8:9]
	v_fmamk_f32 v9, v55, 0x3f737871, v34
	v_add_f32_e32 v12, v25, v12
	v_fmac_f32_e32 v34, 0xbf737871, v55
	v_sub_f32_e32 v9, v9, v21
	v_add_f32_e32 v12, v24, v12
	v_fmac_f32_e32 v35, 0x3f737871, v54
	v_pk_mul_f32 v[28:29], v[12:13], s[6:7] op_sel_hi:[0,1]
	v_add_f32_e32 v12, v20, v9
	v_add_f32_e32 v9, v21, v34
	v_pk_add_f32 v[0:1], v[0:1], v[4:5] op_sel:[0,1] op_sel_hi:[1,0]
	v_pk_add_f32 v[4:5], v[30:31], v[4:5] op_sel:[0,1] op_sel_hi:[1,0] neg_lo:[0,1] neg_hi:[0,1]
	v_pk_fma_f32 v[30:31], v[12:13], s[12:13], v[28:29] neg_lo:[0,0,1] neg_hi:[0,0,1]
	v_pk_fma_f32 v[28:29], v[12:13], s[12:13], v[28:29] op_sel_hi:[0,1,1]
	v_add_f32_e32 v12, v20, v9
	v_sub_f32_e32 v9, v35, v25
	v_pk_fma_f32 v[2:3], v[14:15], s[8:9], v[2:3] op_sel_hi:[1,0,1]
	v_add_f32_e32 v20, v24, v9
	v_mov_b32_e32 v9, v13
	v_pk_mul_f32 v[2:3], v[2:3], s[2:3] op_sel:[1,0]
	v_pk_add_f32 v[16:17], v[16:17], v[32:33]
	v_pk_mul_f32 v[20:21], v[20:21], s[6:7] op_sel_hi:[0,1]
	v_mov_b32_e32 v24, v4
	v_mov_b32_e32 v25, v1
	;; [unrolled: 1-line block ×3, first 2 shown]
	v_pk_fma_f32 v[8:9], v[10:11], s[8:9], v[8:9] op_sel_hi:[1,0,1]
	v_pk_fma_f32 v[2:3], v[18:19], s[16:17], v[2:3] op_sel_hi:[0,1,1] neg_lo:[0,0,1] neg_hi:[0,0,1]
	v_mov_b32_e32 v31, v29
	v_pk_fma_f32 v[20:21], v[12:13], s[14:15], v[20:21] op_sel_hi:[0,1,1] neg_lo:[0,0,1] neg_hi:[0,0,1]
	v_pk_fma_f32 v[4:5], v[16:17], s[8:9], v[24:25] op_sel_hi:[1,0,1]
	v_pk_fma_f32 v[0:1], v[16:17], s[8:9], v[0:1] op_sel_hi:[1,0,1]
	v_pk_add_f32 v[10:11], v[8:9], v[2:3]
	v_pk_add_f32 v[6:7], v[6:7], v[92:93] neg_lo:[0,1] neg_hi:[0,1]
	v_pk_add_f32 v[16:17], v[4:5], v[30:31]
	v_pk_add_f32 v[24:25], v[0:1], v[20:21]
	ds_write2_b64 v43, v[10:11], v[6:7] offset0:4 offset1:5
	v_pk_add_f32 v[6:7], v[22:23], v[26:27] neg_lo:[0,1] neg_hi:[0,1]
	v_pk_add_f32 v[4:5], v[4:5], v[30:31] neg_lo:[0,1] neg_hi:[0,1]
	;; [unrolled: 1-line block ×4, first 2 shown]
	s_mov_b32 s2, 0xcccd
	ds_write2_b64 v43, v[6:7], v[4:5] offset0:6 offset1:7
	ds_write2_b64 v43, v[0:1], v[2:3] offset0:8 offset1:9
	v_mul_u32_u24_sdwa v0, v66, s2 dst_sel:DWORD dst_unused:UNUSED_PAD src0_sel:WORD_0 src1_sel:DWORD
	v_mul_u32_u24_sdwa v4, v69, s2 dst_sel:DWORD dst_unused:UNUSED_PAD src0_sel:WORD_0 src1_sel:DWORD
	v_lshrrev_b32_e32 v30, 19, v0
	v_lshrrev_b32_e32 v33, 19, v4
	v_mul_lo_u16_e32 v0, 10, v30
	v_mul_lo_u16_e32 v4, 10, v33
	v_sub_u16_e32 v31, v66, v0
	v_sub_u16_e32 v32, v69, v4
	v_lshlrev_b32_e32 v0, 4, v31
	v_lshlrev_b32_e32 v4, 4, v32
	ds_write2_b64 v43, v[16:17], v[24:25] offset0:2 offset1:3
	s_waitcnt lgkmcnt(0)
	s_barrier
	global_load_dwordx4 v[0:3], v0, s[4:5]
	s_movk_i32 s3, 0xcd
	global_load_dwordx4 v[12:15], v4, s[4:5]
	v_mul_u32_u24_sdwa v4, v68, s2 dst_sel:DWORD dst_unused:UNUSED_PAD src0_sel:WORD_0 src1_sel:DWORD
	v_lshrrev_b32_e32 v87, 19, v4
	v_mul_lo_u16_e32 v4, 10, v87
	v_sub_u16_e32 v144, v68, v4
	v_lshlrev_b32_e32 v4, 4, v144
	global_load_dwordx4 v[20:23], v4, s[4:5]
	v_mul_u32_u24_sdwa v4, v73, s2 dst_sel:DWORD dst_unused:UNUSED_PAD src0_sel:WORD_0 src1_sel:DWORD
	v_lshrrev_b32_e32 v145, 19, v4
	v_mul_lo_u16_e32 v4, 10, v145
	v_sub_u16_e32 v146, v73, v4
	v_lshlrev_b32_e32 v4, 4, v146
	;; [unrolled: 6-line block ×4, first 2 shown]
	global_load_dwordx4 v[44:47], v4, s[4:5]
	v_mul_lo_u16_sdwa v4, v80, s3 dst_sel:DWORD dst_unused:UNUSED_PAD src0_sel:BYTE_0 src1_sel:DWORD
	v_lshrrev_b16_e32 v151, 11, v4
	v_mul_lo_u16_e32 v4, 10, v151
	v_sub_u16_e32 v152, v80, v4
	v_mov_b32_e32 v53, 4
	v_lshlrev_b32_sdwa v4, v53, v152 dst_sel:DWORD dst_unused:UNUSED_PAD src0_sel:DWORD src1_sel:BYTE_0
	global_load_dwordx4 v[48:51], v4, s[4:5]
	ds_read2_b64 v[16:19], v85 offset0:97 offset1:178
	ds_read2_b64 v[24:27], v81 offset0:139 offset1:220
	v_mul_u32_u24_sdwa v4, v67, s2 dst_sel:DWORD dst_unused:UNUSED_PAD src0_sel:WORD_0 src1_sel:DWORD
	v_lshrrev_b32_e32 v153, 19, v4
	v_mul_lo_u16_e32 v4, 10, v153
	v_sub_u16_e32 v154, v67, v4
	v_lshlrev_b32_e32 v4, 4, v154
	global_load_dwordx4 v[54:57], v4, s[4:5]
	s_mov_b32 s2, 0x3f5db3d7
	s_movk_i32 s6, 0xf0
	v_cmp_gt_u32_e32 vcc, 9, v60
	s_waitcnt vmcnt(7) lgkmcnt(1)
	v_pk_mul_f32 v[6:7], v[18:19], v[0:1] op_sel:[0,1]
	s_nop 0
	v_pk_fma_f32 v[4:5], v[18:19], v[0:1], v[6:7] op_sel:[0,0,1] op_sel_hi:[1,1,0]
	v_pk_fma_f32 v[6:7], v[18:19], v[0:1], v[6:7] op_sel:[0,0,1] op_sel_hi:[1,0,0] neg_lo:[0,0,1] neg_hi:[0,0,1]
	v_mov_b32_e32 v0, v3
	s_waitcnt lgkmcnt(0)
	v_pk_mul_f32 v[8:9], v[26:27], v[0:1] op_sel_hi:[1,0]
	s_waitcnt vmcnt(6)
	v_pk_mul_f32 v[10:11], v[16:17], v[12:13] op_sel:[0,1]
	v_pk_fma_f32 v[0:1], v[26:27], v[2:3], v[8:9] op_sel:[0,0,1] op_sel_hi:[1,1,0]
	v_pk_fma_f32 v[2:3], v[26:27], v[2:3], v[8:9] op_sel:[0,0,1] op_sel_hi:[1,0,0] neg_lo:[0,0,1] neg_hi:[0,0,1]
	v_add_u32_e32 v1, 0x2400, v82
	ds_read2_b64 v[26:29], v1 offset0:63 offset1:144
	v_add_u32_e32 v1, 0x3c00, v82
	ds_read2_b64 v[88:91], v1 offset0:105 offset1:186
	v_mov_b32_e32 v2, v15
	v_pk_fma_f32 v[8:9], v[16:17], v[12:13], v[10:11] op_sel:[0,0,1] op_sel_hi:[1,1,0]
	v_pk_fma_f32 v[12:13], v[16:17], v[12:13], v[10:11] op_sel:[0,0,1] op_sel_hi:[1,0,0] neg_lo:[0,0,1] neg_hi:[0,0,1]
	v_pk_mul_f32 v[16:17], v[24:25], v[2:3] op_sel_hi:[1,0]
	s_waitcnt vmcnt(5) lgkmcnt(1)
	v_pk_mul_f32 v[18:19], v[28:29], v[20:21] op_sel:[0,1]
	v_mov_b32_e32 v2, v23
	v_pk_fma_f32 v[10:11], v[24:25], v[14:15], v[16:17] op_sel:[0,0,1] op_sel_hi:[1,1,0]
	v_pk_fma_f32 v[14:15], v[24:25], v[14:15], v[16:17] op_sel:[0,0,1] op_sel_hi:[1,0,0] neg_lo:[0,0,1] neg_hi:[0,0,1]
	v_pk_fma_f32 v[16:17], v[28:29], v[20:21], v[18:19] op_sel:[0,0,1] op_sel_hi:[1,1,0]
	v_pk_fma_f32 v[20:21], v[28:29], v[20:21], v[18:19] op_sel:[0,0,1] op_sel_hi:[1,0,0] neg_lo:[0,0,1] neg_hi:[0,0,1]
	s_waitcnt lgkmcnt(0)
	v_pk_mul_f32 v[24:25], v[90:91], v[2:3] op_sel_hi:[1,0]
	s_waitcnt vmcnt(4)
	v_pk_mul_f32 v[28:29], v[26:27], v[34:35] op_sel:[0,1]
	v_mov_b32_e32 v2, v37
	v_pk_fma_f32 v[18:19], v[90:91], v[22:23], v[24:25] op_sel:[0,0,1] op_sel_hi:[1,1,0]
	v_pk_fma_f32 v[22:23], v[90:91], v[22:23], v[24:25] op_sel:[0,0,1] op_sel_hi:[1,0,0] neg_lo:[0,0,1] neg_hi:[0,0,1]
	v_pk_fma_f32 v[24:25], v[26:27], v[34:35], v[28:29] op_sel:[0,0,1] op_sel_hi:[1,1,0]
	v_pk_fma_f32 v[28:29], v[26:27], v[34:35], v[28:29] op_sel:[0,0,1] op_sel_hi:[1,0,0] neg_lo:[0,0,1] neg_hi:[0,0,1]
	ds_read2_b64 v[90:93], v77 offset0:29 offset1:110
	v_pk_mul_f32 v[34:35], v[88:89], v[2:3] op_sel_hi:[1,0]
	s_waitcnt vmcnt(3)
	v_mov_b32_e32 v2, v41
	v_pk_fma_f32 v[26:27], v[88:89], v[36:37], v[34:35] op_sel:[0,0,1] op_sel_hi:[1,1,0]
	v_pk_fma_f32 v[58:59], v[88:89], v[36:37], v[34:35] op_sel:[0,0,1] op_sel_hi:[1,0,0] neg_lo:[0,0,1] neg_hi:[0,0,1]
	ds_read2_b64 v[34:37], v75 offset0:71 offset1:152
	s_waitcnt lgkmcnt(1)
	v_pk_mul_f32 v[88:89], v[92:93], v[38:39] op_sel:[0,1]
	v_mul_lo_u16_sdwa v1, v64, s3 dst_sel:DWORD dst_unused:UNUSED_PAD src0_sel:BYTE_0 src1_sel:DWORD
	v_pk_fma_f32 v[94:95], v[92:93], v[38:39], v[88:89] op_sel:[0,0,1] op_sel_hi:[1,1,0]
	v_pk_fma_f32 v[92:93], v[92:93], v[38:39], v[88:89] op_sel:[0,0,1] op_sel_hi:[1,0,0] neg_lo:[0,0,1] neg_hi:[0,0,1]
	s_waitcnt lgkmcnt(0)
	v_pk_mul_f32 v[38:39], v[36:37], v[2:3] op_sel_hi:[1,0]
	s_waitcnt vmcnt(2)
	v_mov_b32_e32 v2, v47
	v_pk_fma_f32 v[96:97], v[36:37], v[40:41], v[38:39] op_sel:[0,0,1] op_sel_hi:[1,1,0]
	v_pk_fma_f32 v[98:99], v[36:37], v[40:41], v[38:39] op_sel:[0,0,1] op_sel_hi:[1,0,0] neg_lo:[0,0,1] neg_hi:[0,0,1]
	v_pk_mul_f32 v[36:37], v[90:91], v[44:45] op_sel:[0,1]
	v_pk_mul_f32 v[40:41], v[34:35], v[2:3] op_sel_hi:[1,0]
	v_pk_fma_f32 v[100:101], v[90:91], v[44:45], v[36:37] op_sel:[0,0,1] op_sel_hi:[1,1,0]
	v_pk_fma_f32 v[102:103], v[90:91], v[44:45], v[36:37] op_sel:[0,0,1] op_sel_hi:[1,0,0] neg_lo:[0,0,1] neg_hi:[0,0,1]
	ds_read2_b64 v[36:39], v83 offset0:123 offset1:204
	v_pk_fma_f32 v[104:105], v[34:35], v[46:47], v[40:41] op_sel:[0,0,1] op_sel_hi:[1,1,0]
	v_pk_fma_f32 v[106:107], v[34:35], v[46:47], v[40:41] op_sel:[0,0,1] op_sel_hi:[1,0,0] neg_lo:[0,0,1] neg_hi:[0,0,1]
	ds_read2_b64 v[44:47], v65 offset0:165 offset1:246
	s_waitcnt vmcnt(1)
	v_mov_b32_e32 v2, v51
	s_waitcnt lgkmcnt(1)
	v_pk_mul_f32 v[34:35], v[38:39], v[48:49] op_sel:[0,1]
	v_lshrrev_b16_e32 v1, 11, v1
	v_mul_lo_u16_sdwa v6, v60, s3 dst_sel:DWORD dst_unused:UNUSED_PAD src0_sel:BYTE_0 src1_sel:DWORD
	v_pk_fma_f32 v[108:109], v[38:39], v[48:49], v[34:35] op_sel:[0,0,1] op_sel_hi:[1,1,0]
	v_pk_fma_f32 v[110:111], v[38:39], v[48:49], v[34:35] op_sel:[0,0,1] op_sel_hi:[1,0,0] neg_lo:[0,0,1] neg_hi:[0,0,1]
	s_waitcnt lgkmcnt(0)
	v_pk_mul_f32 v[34:35], v[46:47], v[2:3] op_sel_hi:[1,0]
	v_mul_lo_u16_e32 v2, 10, v1
	v_lshrrev_b16_e32 v6, 11, v6
	v_sub_u16_e32 v5, v64, v2
	v_mul_lo_u16_e32 v9, 10, v6
	v_lshlrev_b32_sdwa v2, v53, v5 dst_sel:DWORD dst_unused:UNUSED_PAD src0_sel:DWORD src1_sel:BYTE_0
	v_sub_u16_e32 v9, v60, v9
	v_lshlrev_b32_sdwa v11, v53, v9 dst_sel:DWORD dst_unused:UNUSED_PAD src0_sel:DWORD src1_sel:BYTE_0
	global_load_dwordx4 v[38:41], v2, s[4:5]
	global_load_dwordx4 v[88:91], v11, s[4:5]
	v_pk_fma_f32 v[112:113], v[46:47], v[50:51], v[34:35] op_sel:[0,0,1] op_sel_hi:[1,1,0]
	v_pk_fma_f32 v[114:115], v[46:47], v[50:51], v[34:35] op_sel:[0,0,1] op_sel_hi:[1,0,0] neg_lo:[0,0,1] neg_hi:[0,0,1]
	v_lshl_add_u32 v50, v78, 3, 0
	v_lshl_add_u32 v49, v72, 3, 0
	;; [unrolled: 1-line block ×3, first 2 shown]
	v_mul_u32_u24_e32 v1, 0xf0, v1
	v_mov_b32_e32 v109, v111
	v_mov_b32_e32 v113, v115
	;; [unrolled: 1-line block ×8, first 2 shown]
	v_pk_add_f32 v[28:29], v[24:25], v[26:27]
	v_mov_b32_e32 v17, v21
	v_mov_b32_e32 v19, v23
	v_pk_add_f32 v[20:21], v[16:17], v[18:19]
	v_mov_b32_e32 v11, v15
	s_waitcnt vmcnt(1)
	v_pk_mul_f32 v[34:35], v[36:37], v[38:39] op_sel:[0,1]
	v_mov_b32_e32 v2, v41
	v_pk_fma_f32 v[116:117], v[36:37], v[38:39], v[34:35] op_sel:[0,0,1] op_sel_hi:[1,1,0]
	v_pk_fma_f32 v[38:39], v[36:37], v[38:39], v[34:35] op_sel:[0,0,1] op_sel_hi:[1,0,0] neg_lo:[0,0,1] neg_hi:[0,0,1]
	v_pk_mul_f32 v[34:35], v[44:45], v[2:3] op_sel_hi:[1,0]
	v_mov_b32_e32 v2, v57
	v_pk_fma_f32 v[118:119], v[44:45], v[40:41], v[34:35] op_sel:[0,0,1] op_sel_hi:[1,1,0]
	v_pk_fma_f32 v[40:41], v[44:45], v[40:41], v[34:35] op_sel:[0,0,1] op_sel_hi:[1,0,0] neg_lo:[0,0,1] neg_hi:[0,0,1]
	ds_read_b64 v[34:35], v82 offset:18792
	ds_read_b64 v[120:121], v50
	ds_read_b64 v[122:123], v49
	;; [unrolled: 1-line block ×3, first 2 shown]
	v_mov_b32_e32 v117, v39
	v_mov_b32_e32 v119, v41
	v_pk_add_f32 v[40:41], v[116:117], v[118:119] neg_lo:[0,1] neg_hi:[0,1]
	s_waitcnt lgkmcnt(3)
	v_pk_mul_f32 v[36:37], v[34:35], v[2:3] op_sel_hi:[1,0]
	s_waitcnt vmcnt(0)
	v_mov_b32_e32 v2, v91
	v_pk_fma_f32 v[124:125], v[34:35], v[56:57], v[36:37] op_sel:[0,0,1] op_sel_hi:[1,1,0]
	v_pk_fma_f32 v[56:57], v[34:35], v[56:57], v[36:37] op_sel:[0,0,1] op_sel_hi:[1,0,0] neg_lo:[0,0,1] neg_hi:[0,0,1]
	ds_read2_b64 v[34:37], v65 offset0:3 offset1:84
	v_mov_b32_e32 v125, v57
	s_waitcnt lgkmcnt(0)
	v_pk_mul_f32 v[46:47], v[34:35], v[54:55] op_sel:[0,1]
	s_nop 0
	v_pk_fma_f32 v[126:127], v[34:35], v[54:55], v[46:47] op_sel:[0,0,1] op_sel_hi:[1,1,0]
	v_pk_fma_f32 v[34:35], v[34:35], v[54:55], v[46:47] op_sel:[0,0,1] op_sel_hi:[1,0,0] neg_lo:[0,0,1] neg_hi:[0,0,1]
	v_pk_mul_f32 v[46:47], v[36:37], v[2:3] op_sel_hi:[1,0]
	v_mov_b32_e32 v127, v35
	v_pk_fma_f32 v[54:55], v[36:37], v[90:91], v[46:47] op_sel:[0,0,1] op_sel_hi:[1,1,0]
	v_pk_fma_f32 v[36:37], v[36:37], v[90:91], v[46:47] op_sel:[0,0,1] op_sel_hi:[1,0,0] neg_lo:[0,0,1] neg_hi:[0,0,1]
	ds_read2_b32 v[46:47], v83 offset0:84 offset1:85
	v_mov_b32_e32 v55, v37
	s_waitcnt lgkmcnt(0)
	v_mov_b32_e32 v2, v47
	v_pk_mul_f32 v[90:91], v[2:3], v[88:89] op_sel_hi:[0,1]
	v_pk_fma_f32 v[128:129], v[88:89], v[46:47], v[90:91] op_sel:[0,0,1] op_sel_hi:[1,1,0]
	v_pk_fma_f32 v[46:47], v[88:89], v[46:47], v[90:91] op_sel:[0,0,1] op_sel_hi:[1,0,0] neg_lo:[1,0,0] neg_hi:[1,0,0]
	v_mul_u32_u24_e32 v2, 0xf0, v6
	v_mov_b32_e32 v129, v47
	v_pk_add_f32 v[36:37], v[128:129], v[54:55]
	v_lshl_add_u32 v47, v68, 3, 0
	v_pk_fma_f32 v[36:37], v[36:37], 0.5, v[44:45] op_sel_hi:[1,0,1] neg_lo:[1,0,0] neg_hi:[1,0,0]
	v_pk_add_f32 v[44:45], v[44:45], v[128:129]
	v_lshl_add_u32 v46, v74, 3, 0
	v_pk_add_f32 v[88:89], v[44:45], v[54:55]
	v_pk_add_f32 v[44:45], v[128:129], v[54:55] neg_lo:[0,1] neg_hi:[0,1]
	v_mov_b32_e32 v54, 3
	v_pk_mul_f32 v[44:45], v[44:45], s[2:3] op_sel_hi:[1,0]
	s_movk_i32 s3, 0xffb8
	v_pk_add_f32 v[90:91], v[36:37], v[44:45] op_sel:[0,1] op_sel_hi:[1,0] neg_lo:[0,1] neg_hi:[0,1]
	v_pk_add_f32 v[36:37], v[36:37], v[44:45] op_sel:[0,1] op_sel_hi:[1,0]
	v_lshl_add_u32 v44, v70, 3, 0
	v_mad_i32_i24 v52, v64, s3, v42
	v_mad_i32_i24 v51, v80, s3, v43
	v_lshl_add_u32 v45, v66, 3, 0
	ds_read_b64 v[128:129], v44
	ds_read_b64 v[130:131], v45
	ds_read_b64 v[132:133], v46
	ds_read_b64 v[134:135], v47
	ds_read_b64 v[136:137], v48
	ds_read_b64 v[138:139], v51
	ds_read_b64 v[140:141], v52
	v_lshlrev_b32_sdwa v6, v54, v9 dst_sel:DWORD dst_unused:UNUSED_PAD src0_sel:DWORD src1_sel:BYTE_0
	v_add3_u32 v2, 0, v2, v6
	v_mov_b32_e32 v143, v37
	v_mov_b32_e32 v37, v91
	s_waitcnt lgkmcnt(0)
	s_barrier
	ds_write_b64 v2, v[36:37] offset:160
	v_pk_add_f32 v[36:37], v[116:117], v[118:119]
	v_mov_b32_e32 v142, v90
	v_pk_fma_f32 v[36:37], v[36:37], 0.5, v[140:141] op_sel_hi:[1,0,1] neg_lo:[1,0,0] neg_hi:[1,0,0]
	v_pk_mul_f32 v[40:41], v[40:41], s[2:3] op_sel_hi:[1,0]
	ds_write2_b64 v2, v[88:89], v[142:143] offset1:10
	v_pk_add_f32 v[38:39], v[140:141], v[116:117]
	v_pk_add_f32 v[88:89], v[36:37], v[40:41] op_sel:[0,1] op_sel_hi:[1,0] neg_lo:[0,1] neg_hi:[0,1]
	v_pk_add_f32 v[36:37], v[36:37], v[40:41] op_sel:[0,1] op_sel_hi:[1,0]
	v_lshlrev_b32_sdwa v2, v54, v5 dst_sel:DWORD dst_unused:UNUSED_PAD src0_sel:DWORD src1_sel:BYTE_0
	v_pk_add_f32 v[38:39], v[38:39], v[118:119]
	v_add3_u32 v1, 0, v1, v2
	v_mov_b32_e32 v40, v88
	v_mov_b32_e32 v41, v37
	;; [unrolled: 1-line block ×3, first 2 shown]
	ds_write2_b64 v1, v[38:39], v[40:41] offset1:10
	ds_write_b64 v1, v[36:37] offset:160
	v_pk_add_f32 v[36:37], v[108:109], v[112:113]
	v_pk_add_f32 v[40:41], v[108:109], v[112:113] neg_lo:[0,1] neg_hi:[0,1]
	v_pk_fma_f32 v[36:37], v[36:37], 0.5, v[138:139] op_sel_hi:[1,0,1] neg_lo:[1,0,0] neg_hi:[1,0,0]
	v_pk_mul_f32 v[40:41], v[40:41], s[2:3] op_sel_hi:[1,0]
	v_pk_add_f32 v[38:39], v[138:139], v[108:109]
	v_pk_add_f32 v[88:89], v[36:37], v[40:41] op_sel:[0,1] op_sel_hi:[1,0] neg_lo:[0,1] neg_hi:[0,1]
	v_pk_add_f32 v[36:37], v[36:37], v[40:41] op_sel:[0,1] op_sel_hi:[1,0]
	v_mul_u32_u24_e32 v1, 0xf0, v151
	v_lshlrev_b32_sdwa v2, v54, v152 dst_sel:DWORD dst_unused:UNUSED_PAD src0_sel:DWORD src1_sel:BYTE_0
	v_pk_add_f32 v[38:39], v[38:39], v[112:113]
	v_add3_u32 v1, 0, v1, v2
	v_mov_b32_e32 v40, v88
	v_mov_b32_e32 v41, v37
	;; [unrolled: 1-line block ×3, first 2 shown]
	ds_write2_b64 v1, v[38:39], v[40:41] offset1:10
	ds_write_b64 v1, v[36:37] offset:160
	v_pk_add_f32 v[36:37], v[100:101], v[104:105]
	v_pk_add_f32 v[40:41], v[100:101], v[104:105] neg_lo:[0,1] neg_hi:[0,1]
	v_pk_fma_f32 v[36:37], v[36:37], 0.5, v[120:121] op_sel_hi:[1,0,1] neg_lo:[1,0,0] neg_hi:[1,0,0]
	v_pk_mul_f32 v[40:41], v[40:41], s[2:3] op_sel_hi:[1,0]
	v_pk_add_f32 v[38:39], v[120:121], v[100:101]
	v_pk_add_f32 v[88:89], v[36:37], v[40:41] op_sel:[0,1] op_sel_hi:[1,0] neg_lo:[0,1] neg_hi:[0,1]
	v_pk_add_f32 v[36:37], v[36:37], v[40:41] op_sel:[0,1] op_sel_hi:[1,0]
	v_mul_u32_u24_e32 v1, 0xf0, v149
	v_lshlrev_b32_e32 v2, 3, v150
	v_pk_add_f32 v[38:39], v[38:39], v[104:105]
	v_add3_u32 v1, 0, v1, v2
	v_mov_b32_e32 v40, v88
	v_mov_b32_e32 v41, v37
	ds_write2_b64 v1, v[38:39], v[40:41] offset1:10
	v_pk_add_f32 v[40:41], v[94:95], v[96:97] neg_lo:[0,1] neg_hi:[0,1]
	v_mov_b32_e32 v37, v89
	v_pk_mul_f32 v[40:41], v[40:41], s[2:3] op_sel_hi:[1,0]
	s_mov_b32 s3, 0x5040100
	ds_write_b64 v1, v[36:37] offset:160
	v_pk_add_f32 v[36:37], v[94:95], v[96:97]
	v_perm_b32 v1, v145, v147, s3
	v_pk_fma_f32 v[36:37], v[36:37], 0.5, v[122:123] op_sel_hi:[1,0,1] neg_lo:[1,0,0] neg_hi:[1,0,0]
	v_pk_mul_lo_u16 v1, v1, s6 op_sel_hi:[1,0]
	v_pk_add_f32 v[88:89], v[36:37], v[40:41] op_sel:[0,1] op_sel_hi:[1,0] neg_lo:[0,1] neg_hi:[0,1]
	v_pk_add_f32 v[36:37], v[36:37], v[40:41] op_sel:[0,1] op_sel_hi:[1,0]
	v_lshlrev_b32_e32 v2, 3, v148
	v_and_b32_e32 v5, 0xfff0, v1
	v_add3_u32 v2, 0, v5, v2
	v_mov_b32_e32 v41, v37
	v_mov_b32_e32 v37, v89
	v_pk_add_f32 v[38:39], v[122:123], v[94:95]
	ds_write_b64 v2, v[36:37] offset:160
	v_pk_add_f32 v[36:37], v[136:137], v[24:25]
	v_pk_add_f32 v[24:25], v[24:25], v[26:27] neg_lo:[0,1] neg_hi:[0,1]
	v_pk_add_f32 v[38:39], v[38:39], v[96:97]
	v_mov_b32_e32 v40, v88
	v_pk_fma_f32 v[28:29], v[28:29], 0.5, v[136:137] op_sel_hi:[1,0,1] neg_lo:[1,0,0] neg_hi:[1,0,0]
	v_pk_mul_f32 v[24:25], v[24:25], s[2:3] op_sel_hi:[1,0]
	ds_write2_b64 v2, v[38:39], v[40:41] offset1:10
	v_pk_add_f32 v[36:37], v[36:37], v[26:27]
	v_pk_add_f32 v[26:27], v[28:29], v[24:25] op_sel:[0,1] op_sel_hi:[1,0] neg_lo:[0,1] neg_hi:[0,1]
	v_pk_add_f32 v[24:25], v[28:29], v[24:25] op_sel:[0,1] op_sel_hi:[1,0]
	v_lshrrev_b32_e32 v1, 16, v1
	v_lshlrev_b32_e32 v2, 3, v146
	v_add3_u32 v1, 0, v1, v2
	v_mov_b32_e32 v28, v26
	v_mov_b32_e32 v29, v25
	;; [unrolled: 1-line block ×3, first 2 shown]
	ds_write2_b64 v1, v[36:37], v[28:29] offset1:10
	ds_write_b64 v1, v[24:25] offset:160
	v_pk_add_f32 v[22:23], v[134:135], v[16:17]
	v_pk_add_f32 v[16:17], v[16:17], v[18:19] neg_lo:[0,1] neg_hi:[0,1]
	v_perm_b32 v1, v33, v87, s3
	v_pk_fma_f32 v[20:21], v[20:21], 0.5, v[134:135] op_sel_hi:[1,0,1] neg_lo:[1,0,0] neg_hi:[1,0,0]
	v_pk_mul_f32 v[16:17], v[16:17], s[2:3] op_sel_hi:[1,0]
	v_pk_mul_lo_u16 v1, v1, s6 op_sel_hi:[1,0]
	v_mov_b32_e32 v9, v13
	v_pk_add_f32 v[22:23], v[22:23], v[18:19]
	v_pk_add_f32 v[18:19], v[20:21], v[16:17] op_sel:[0,1] op_sel_hi:[1,0] neg_lo:[0,1] neg_hi:[0,1]
	v_pk_add_f32 v[16:17], v[20:21], v[16:17] op_sel:[0,1] op_sel_hi:[1,0]
	v_lshlrev_b32_e32 v2, 3, v144
	v_and_b32_e32 v5, 0xfff0, v1
	v_pk_add_f32 v[12:13], v[8:9], v[10:11]
	v_pk_add_f32 v[14:15], v[132:133], v[8:9]
	v_pk_add_f32 v[8:9], v[8:9], v[10:11] neg_lo:[0,1] neg_hi:[0,1]
	v_add3_u32 v2, 0, v5, v2
	v_mov_b32_e32 v20, v18
	v_mov_b32_e32 v21, v17
	;; [unrolled: 1-line block ×3, first 2 shown]
	v_pk_fma_f32 v[12:13], v[12:13], 0.5, v[132:133] op_sel_hi:[1,0,1] neg_lo:[1,0,0] neg_hi:[1,0,0]
	v_pk_mul_f32 v[8:9], v[8:9], s[2:3] op_sel_hi:[1,0]
	ds_write2_b64 v2, v[22:23], v[20:21] offset1:10
	ds_write_b64 v2, v[16:17] offset:160
	v_pk_add_f32 v[14:15], v[14:15], v[10:11]
	v_pk_add_f32 v[10:11], v[12:13], v[8:9] op_sel:[0,1] op_sel_hi:[1,0] neg_lo:[0,1] neg_hi:[0,1]
	v_pk_add_f32 v[8:9], v[12:13], v[8:9] op_sel:[0,1] op_sel_hi:[1,0]
	v_lshrrev_b32_e32 v1, 16, v1
	v_lshlrev_b32_e32 v2, 3, v32
	v_add3_u32 v1, 0, v1, v2
	v_mov_b32_e32 v12, v10
	v_mov_b32_e32 v13, v9
	;; [unrolled: 1-line block ×4, first 2 shown]
	ds_write2_b64 v1, v[14:15], v[12:13] offset1:10
	ds_write_b64 v1, v[8:9] offset:160
	v_mov_b32_e32 v1, v3
	v_pk_add_f32 v[6:7], v[130:131], v[4:5]
	v_pk_add_f32 v[2:3], v[4:5], v[0:1]
	;; [unrolled: 1-line block ×3, first 2 shown]
	v_pk_add_f32 v[0:1], v[4:5], v[0:1] neg_lo:[0,1] neg_hi:[0,1]
	v_pk_fma_f32 v[2:3], v[2:3], 0.5, v[130:131] op_sel_hi:[1,0,1] neg_lo:[1,0,0] neg_hi:[1,0,0]
	v_pk_mul_f32 v[0:1], v[0:1], s[2:3] op_sel_hi:[1,0]
	s_nop 0
	v_pk_add_f32 v[4:5], v[2:3], v[0:1] op_sel:[0,1] op_sel_hi:[1,0] neg_lo:[0,1] neg_hi:[0,1]
	v_pk_add_f32 v[0:1], v[2:3], v[0:1] op_sel:[0,1] op_sel_hi:[1,0]
	v_perm_b32 v2, v153, v30, s3
	v_pk_mul_lo_u16 v8, v2, s6 op_sel_hi:[1,0]
	v_lshlrev_b32_e32 v2, 3, v31
	v_and_b32_e32 v3, 0xfff0, v8
	v_add3_u32 v9, 0, v3, v2
	v_mov_b32_e32 v2, v4
	v_mov_b32_e32 v3, v1
	ds_write2_b64 v9, v[6:7], v[2:3] offset1:10
	v_lshrrev_b32_e32 v1, 16, v8
	v_lshlrev_b32_e32 v2, 3, v154
	v_add3_u32 v8, 0, v1, v2
	v_mov_b32_e32 v1, v5
	ds_write_b64 v9, v[0:1] offset:160
	v_pk_add_f32 v[0:1], v[126:127], v[124:125]
	v_pk_add_f32 v[4:5], v[126:127], v[124:125] neg_lo:[0,1] neg_hi:[0,1]
	v_pk_fma_f32 v[0:1], v[0:1], 0.5, v[128:129] op_sel_hi:[1,0,1] neg_lo:[1,0,0] neg_hi:[1,0,0]
	v_pk_mul_f32 v[4:5], v[4:5], s[2:3] op_sel_hi:[1,0]
	s_mov_b32 s6, 0x8889
	v_pk_add_f32 v[6:7], v[0:1], v[4:5] op_sel:[0,1] op_sel_hi:[1,0] neg_lo:[0,1] neg_hi:[0,1]
	v_pk_add_f32 v[0:1], v[0:1], v[4:5] op_sel:[0,1] op_sel_hi:[1,0]
	v_pk_add_f32 v[2:3], v[128:129], v[126:127]
	v_mov_b32_e32 v5, v1
	v_mov_b32_e32 v1, v7
	ds_write_b64 v8, v[0:1] offset:160
	v_mul_u32_u24_sdwa v0, v67, s6 dst_sel:DWORD dst_unused:UNUSED_PAD src0_sel:WORD_0 src1_sel:DWORD
	v_lshrrev_b32_e32 v56, 20, v0
	v_mul_lo_u16_e32 v0, 30, v56
	v_sub_u16_e32 v55, v67, v0
	v_pk_add_f32 v[2:3], v[2:3], v[124:125]
	v_mov_b32_e32 v4, v6
	v_lshlrev_b32_e32 v0, 4, v55
	ds_write2_b64 v8, v[2:3], v[4:5] offset1:10
	s_waitcnt lgkmcnt(0)
	s_barrier
	global_load_dwordx4 v[4:7], v0, s[4:5] offset:160
	v_mul_u32_u24_sdwa v0, v66, s6 dst_sel:DWORD dst_unused:UNUSED_PAD src0_sel:WORD_0 src1_sel:DWORD
	v_lshrrev_b32_e32 v57, 20, v0
	v_mul_lo_u16_e32 v0, 30, v57
	v_sub_u16_e32 v58, v66, v0
	v_lshlrev_b32_e32 v0, 4, v58
	global_load_dwordx4 v[12:15], v0, s[4:5] offset:160
	v_mul_u32_u24_sdwa v0, v69, s6 dst_sel:DWORD dst_unused:UNUSED_PAD src0_sel:WORD_0 src1_sel:DWORD
	v_lshrrev_b32_e32 v59, 20, v0
	v_mul_lo_u16_e32 v0, 30, v59
	v_sub_u16_e32 v87, v69, v0
	v_lshlrev_b32_e32 v0, 4, v87
	;; [unrolled: 6-line block ×5, first 2 shown]
	global_load_dwordx4 v[88:91], v0, s[4:5] offset:160
	ds_read2_b64 v[16:19], v79 offset0:50 offset1:131
	ds_read2_b64 v[24:27], v86 offset0:92 offset1:173
	;; [unrolled: 1-line block ×5, first 2 shown]
	s_waitcnt vmcnt(5) lgkmcnt(4)
	v_pk_mul_f32 v[2:3], v[18:19], v[4:5] op_sel:[0,1]
	s_nop 0
	v_pk_fma_f32 v[0:1], v[18:19], v[4:5], v[2:3] op_sel:[0,0,1] op_sel_hi:[1,1,0]
	v_pk_fma_f32 v[4:5], v[18:19], v[4:5], v[2:3] op_sel:[0,0,1] op_sel_hi:[1,0,0] neg_lo:[0,0,1] neg_hi:[0,0,1]
	v_mov_b32_e32 v2, v7
	s_waitcnt lgkmcnt(3)
	v_pk_mul_f32 v[8:9], v[26:27], v[2:3] op_sel_hi:[1,0]
	v_mul_u32_u24_sdwa v1, v78, s6 dst_sel:DWORD dst_unused:UNUSED_PAD src0_sel:WORD_0 src1_sel:DWORD
	s_waitcnt vmcnt(4)
	v_pk_mul_f32 v[10:11], v[16:17], v[12:13] op_sel:[0,1]
	v_mov_b32_e32 v4, v15
	v_pk_fma_f32 v[2:3], v[26:27], v[6:7], v[8:9] op_sel:[0,0,1] op_sel_hi:[1,1,0]
	v_pk_fma_f32 v[6:7], v[26:27], v[6:7], v[8:9] op_sel:[0,0,1] op_sel_hi:[1,0,0] neg_lo:[0,0,1] neg_hi:[0,0,1]
	v_pk_fma_f32 v[8:9], v[16:17], v[12:13], v[10:11] op_sel:[0,0,1] op_sel_hi:[1,1,0]
	v_pk_fma_f32 v[12:13], v[16:17], v[12:13], v[10:11] op_sel:[0,0,1] op_sel_hi:[1,0,0] neg_lo:[0,0,1] neg_hi:[0,0,1]
	v_pk_mul_f32 v[16:17], v[24:25], v[4:5] op_sel_hi:[1,0]
	s_waitcnt vmcnt(3)
	v_mov_b32_e32 v4, v23
	v_pk_fma_f32 v[10:11], v[24:25], v[14:15], v[16:17] op_sel:[0,0,1] op_sel_hi:[1,1,0]
	v_pk_fma_f32 v[14:15], v[24:25], v[14:15], v[16:17] op_sel:[0,0,1] op_sel_hi:[1,0,0] neg_lo:[0,0,1] neg_hi:[0,0,1]
	s_waitcnt lgkmcnt(2)
	v_pk_mul_f32 v[18:19], v[34:35], v[20:21] op_sel:[0,1]
	s_waitcnt lgkmcnt(1)
	v_pk_mul_f32 v[24:25], v[94:95], v[4:5] op_sel_hi:[1,0]
	v_pk_fma_f32 v[16:17], v[34:35], v[20:21], v[18:19] op_sel:[0,0,1] op_sel_hi:[1,1,0]
	v_pk_fma_f32 v[20:21], v[34:35], v[20:21], v[18:19] op_sel:[0,0,1] op_sel_hi:[1,0,0] neg_lo:[0,0,1] neg_hi:[0,0,1]
	v_pk_fma_f32 v[18:19], v[94:95], v[22:23], v[24:25] op_sel:[0,0,1] op_sel_hi:[1,1,0]
	v_pk_fma_f32 v[22:23], v[94:95], v[22:23], v[24:25] op_sel:[0,0,1] op_sel_hi:[1,0,0] neg_lo:[0,0,1] neg_hi:[0,0,1]
	ds_read2_b64 v[94:97], v77 offset0:110 offset1:191
	v_lshrrev_b32_e32 v1, 20, v1
	s_waitcnt vmcnt(2)
	v_pk_mul_f32 v[26:27], v[32:33], v[28:29] op_sel:[0,1]
	v_mov_b32_e32 v4, v31
	v_mul_lo_u16_e32 v3, 30, v1
	v_pk_fma_f32 v[24:25], v[32:33], v[28:29], v[26:27] op_sel:[0,0,1] op_sel_hi:[1,1,0]
	v_pk_fma_f32 v[28:29], v[32:33], v[28:29], v[26:27] op_sel:[0,0,1] op_sel_hi:[1,0,0] neg_lo:[0,0,1] neg_hi:[0,0,1]
	v_pk_mul_f32 v[32:33], v[92:93], v[4:5] op_sel_hi:[1,0]
	s_waitcnt vmcnt(1)
	v_mov_b32_e32 v4, v39
	v_sub_u16_e32 v3, v78, v3
	s_waitcnt lgkmcnt(0)
	v_pk_mul_f32 v[34:35], v[96:97], v[36:37] op_sel:[0,1]
	v_pk_mul_f32 v[40:41], v[100:101], v[4:5] op_sel_hi:[1,0]
	v_lshlrev_b32_e32 v4, 4, v3
	v_pk_fma_f32 v[26:27], v[92:93], v[30:31], v[32:33] op_sel:[0,0,1] op_sel_hi:[1,1,0]
	v_pk_fma_f32 v[30:31], v[92:93], v[30:31], v[32:33] op_sel:[0,0,1] op_sel_hi:[1,0,0] neg_lo:[0,0,1] neg_hi:[0,0,1]
	v_pk_fma_f32 v[32:33], v[96:97], v[36:37], v[34:35] op_sel:[0,0,1] op_sel_hi:[1,1,0]
	v_pk_fma_f32 v[36:37], v[96:97], v[36:37], v[34:35] op_sel:[0,0,1] op_sel_hi:[1,0,0] neg_lo:[0,0,1] neg_hi:[0,0,1]
	;; [unrolled: 2-line block ×3, first 2 shown]
	global_load_dwordx4 v[100:103], v4, s[4:5] offset:160
	s_waitcnt vmcnt(1)
	v_pk_mul_f32 v[92:93], v[94:95], v[88:89] op_sel:[0,1]
	v_mov_b32_e32 v4, v91
	s_movk_i32 s6, 0x89
	v_pk_fma_f32 v[40:41], v[94:95], v[88:89], v[92:93] op_sel:[0,0,1] op_sel_hi:[1,1,0]
	v_pk_fma_f32 v[104:105], v[94:95], v[88:89], v[92:93] op_sel:[0,0,1] op_sel_hi:[1,0,0] neg_lo:[0,0,1] neg_hi:[0,0,1]
	v_pk_mul_f32 v[88:89], v[98:99], v[4:5] op_sel_hi:[1,0]
	v_mul_lo_u16_sdwa v4, v80, s6 dst_sel:DWORD dst_unused:UNUSED_PAD src0_sel:BYTE_0 src1_sel:DWORD
	v_lshrrev_b16_e32 v6, 12, v4
	v_mul_lo_u16_e32 v4, 30, v6
	v_sub_u16_e32 v9, v80, v4
	v_lshlrev_b32_sdwa v4, v53, v9 dst_sel:DWORD dst_unused:UNUSED_PAD src0_sel:DWORD src1_sel:BYTE_0
	v_pk_fma_f32 v[106:107], v[98:99], v[90:91], v[88:89] op_sel:[0,0,1] op_sel_hi:[1,1,0]
	v_pk_fma_f32 v[108:109], v[98:99], v[90:91], v[88:89] op_sel:[0,0,1] op_sel_hi:[1,0,0] neg_lo:[0,0,1] neg_hi:[0,0,1]
	global_load_dwordx4 v[88:91], v4, s[4:5] offset:160
	ds_read2_b64 v[92:95], v71 offset0:76 offset1:157
	v_mul_u32_u24_e32 v1, 0x2d0, v1
	v_lshlrev_b32_e32 v3, 3, v3
	v_add3_u32 v1, 0, v1, v3
	v_mov_b32_e32 v41, v105
	v_mov_b32_e32 v107, v109
	;; [unrolled: 1-line block ×4, first 2 shown]
	v_lshlrev_b32_e32 v3, 3, v149
	v_pk_add_f32 v[36:37], v[32:33], v[34:35]
	v_mov_b32_e32 v25, v29
	v_mov_b32_e32 v27, v31
	v_pk_add_f32 v[28:29], v[24:25], v[26:27]
	s_waitcnt vmcnt(1) lgkmcnt(0)
	v_pk_mul_f32 v[96:97], v[94:95], v[100:101] op_sel:[0,1]
	s_nop 0
	v_pk_fma_f32 v[110:111], v[94:95], v[100:101], v[96:97] op_sel:[0,0,1] op_sel_hi:[1,1,0]
	v_pk_fma_f32 v[100:101], v[94:95], v[100:101], v[96:97] op_sel:[0,0,1] op_sel_hi:[1,0,0] neg_lo:[0,0,1] neg_hi:[0,0,1]
	ds_read2_b64 v[94:97], v84 offset0:118 offset1:199
	v_mov_b32_e32 v4, v103
	v_mov_b32_e32 v111, v101
	s_waitcnt lgkmcnt(0)
	v_pk_mul_f32 v[98:99], v[96:97], v[4:5] op_sel_hi:[1,0]
	s_nop 0
	v_pk_fma_f32 v[112:113], v[96:97], v[102:103], v[98:99] op_sel:[0,0,1] op_sel_hi:[1,1,0]
	v_pk_fma_f32 v[102:103], v[96:97], v[102:103], v[98:99] op_sel:[0,0,1] op_sel_hi:[1,0,0] neg_lo:[0,0,1] neg_hi:[0,0,1]
	s_waitcnt vmcnt(0)
	v_pk_mul_f32 v[96:97], v[92:93], v[88:89] op_sel:[0,1]
	v_mov_b32_e32 v4, v91
	v_pk_fma_f32 v[114:115], v[92:93], v[88:89], v[96:97] op_sel:[0,0,1] op_sel_hi:[1,1,0]
	v_pk_fma_f32 v[116:117], v[92:93], v[88:89], v[96:97] op_sel:[0,0,1] op_sel_hi:[1,0,0] neg_lo:[0,0,1] neg_hi:[0,0,1]
	v_pk_mul_f32 v[88:89], v[94:95], v[4:5] op_sel_hi:[1,0]
	v_mul_lo_u16_sdwa v4, v64, s6 dst_sel:DWORD dst_unused:UNUSED_PAD src0_sel:BYTE_0 src1_sel:DWORD
	v_lshrrev_b16_e32 v11, 12, v4
	v_mul_lo_u16_e32 v4, 30, v11
	v_sub_u16_e32 v12, v64, v4
	v_mul_lo_u16_sdwa v4, v60, s6 dst_sel:DWORD dst_unused:UNUSED_PAD src0_sel:BYTE_0 src1_sel:DWORD
	v_lshrrev_b16_e32 v14, 12, v4
	v_mul_lo_u16_e32 v4, 30, v14
	v_sub_u16_e32 v17, v60, v4
	v_lshlrev_b32_sdwa v19, v53, v12 dst_sel:DWORD dst_unused:UNUSED_PAD src0_sel:DWORD src1_sel:BYTE_0
	v_pk_fma_f32 v[118:119], v[94:95], v[90:91], v[88:89] op_sel:[0,0,1] op_sel_hi:[1,1,0]
	v_pk_fma_f32 v[120:121], v[94:95], v[90:91], v[88:89] op_sel:[0,0,1] op_sel_hi:[1,0,0] neg_lo:[0,0,1] neg_hi:[0,0,1]
	v_lshlrev_b32_sdwa v20, v53, v17 dst_sel:DWORD dst_unused:UNUSED_PAD src0_sel:DWORD src1_sel:BYTE_0
	ds_read2_b32 v[96:97], v83 offset0:246 offset1:247
	global_load_dwordx4 v[88:91], v19, s[4:5] offset:160
	global_load_dwordx4 v[92:95], v20, s[4:5] offset:160
	v_mov_b32_e32 v115, v117
	v_mov_b32_e32 v119, v121
	;; [unrolled: 1-line block ×3, first 2 shown]
	s_waitcnt lgkmcnt(0)
	v_mov_b32_e32 v4, v97
	s_movk_i32 s6, 0x2d0
	v_mov_b32_e32 v19, v23
	s_waitcnt vmcnt(1)
	v_pk_mul_f32 v[98:99], v[4:5], v[88:89] op_sel_hi:[0,1]
	v_pk_fma_f32 v[122:123], v[88:89], v[96:97], v[98:99] op_sel:[0,0,1] op_sel_hi:[1,1,0]
	v_pk_fma_f32 v[88:89], v[88:89], v[96:97], v[98:99] op_sel:[0,0,1] op_sel_hi:[1,0,0] neg_lo:[1,0,0] neg_hi:[1,0,0]
	ds_read2_b64 v[96:99], v65 offset0:84 offset1:165
	v_mov_b32_e32 v4, v91
	v_mov_b32_e32 v123, v89
	s_waitcnt lgkmcnt(0)
	v_pk_mul_f32 v[124:125], v[98:99], v[4:5] op_sel_hi:[1,0]
	s_nop 0
	v_pk_fma_f32 v[126:127], v[98:99], v[90:91], v[124:125] op_sel:[0,0,1] op_sel_hi:[1,1,0]
	v_pk_fma_f32 v[90:91], v[98:99], v[90:91], v[124:125] op_sel:[0,0,1] op_sel_hi:[1,0,0] neg_lo:[0,0,1] neg_hi:[0,0,1]
	s_waitcnt vmcnt(0)
	v_pk_mul_f32 v[98:99], v[94:95], v[96:97] op_sel:[0,1]
	v_mul_u32_u24_e32 v4, 0x2d0, v14
	v_pk_fma_f32 v[124:125], v[94:95], v[96:97], v[98:99] op_sel:[0,0,1] op_sel_hi:[1,1,0]
	v_pk_fma_f32 v[94:95], v[94:95], v[96:97], v[98:99] op_sel:[0,0,1] op_sel_hi:[1,0,0] neg_lo:[1,0,0] neg_hi:[1,0,0]
	ds_read_b64 v[96:97], v82 offset:6480
	ds_read_b64 v[98:99], v50
	ds_read_b64 v[128:129], v49
	;; [unrolled: 1-line block ×3, first 2 shown]
	v_mov_b32_e32 v125, v95
	s_waitcnt lgkmcnt(3)
	v_pk_mul_f32 v[132:133], v[92:93], v[96:97] op_sel:[0,1]
	v_lshlrev_b32_sdwa v14, v54, v17 dst_sel:DWORD dst_unused:UNUSED_PAD src0_sel:DWORD src1_sel:BYTE_0
	v_pk_fma_f32 v[134:135], v[92:93], v[96:97], v[132:133] op_sel:[0,0,1] op_sel_hi:[1,1,0]
	v_pk_fma_f32 v[92:93], v[92:93], v[96:97], v[132:133] op_sel:[0,0,1] op_sel_hi:[1,0,0] neg_lo:[1,0,0] neg_hi:[1,0,0]
	v_add3_u32 v4, 0, v4, v14
	v_mov_b32_e32 v135, v93
	v_pk_add_f32 v[92:93], v[134:135], v[124:125]
	v_pk_add_f32 v[96:97], v[134:135], v[124:125] neg_lo:[0,1] neg_hi:[0,1]
	s_waitcnt lgkmcnt(0)
	v_pk_fma_f32 v[92:93], v[92:93], 0.5, v[130:131] op_sel_hi:[1,0,1] neg_lo:[1,0,0] neg_hi:[1,0,0]
	v_pk_add_f32 v[94:95], v[130:131], v[134:135]
	v_pk_mul_f32 v[96:97], v[96:97], s[2:3] op_sel_hi:[1,0]
	v_pk_add_f32 v[94:95], v[94:95], v[124:125]
	v_pk_add_f32 v[124:125], v[92:93], v[96:97] op_sel:[0,1] op_sel_hi:[1,0] neg_lo:[0,1] neg_hi:[0,1]
	v_pk_add_f32 v[92:93], v[92:93], v[96:97] op_sel:[0,1] op_sel_hi:[1,0]
	ds_read_b64 v[96:97], v44
	ds_read_b64 v[130:131], v45
	;; [unrolled: 1-line block ×7, first 2 shown]
	v_mov_b32_e32 v143, v93
	v_mov_b32_e32 v93, v125
	v_mov_b32_e32 v127, v91
	s_waitcnt lgkmcnt(0)
	s_barrier
	ds_write_b64 v4, v[92:93] offset:480
	v_pk_add_f32 v[88:89], v[122:123], v[126:127]
	v_pk_add_f32 v[92:93], v[122:123], v[126:127] neg_lo:[0,1] neg_hi:[0,1]
	v_mov_b32_e32 v142, v124
	v_pk_fma_f32 v[88:89], v[88:89], 0.5, v[140:141] op_sel_hi:[1,0,1] neg_lo:[1,0,0] neg_hi:[1,0,0]
	v_pk_mul_f32 v[92:93], v[92:93], s[2:3] op_sel_hi:[1,0]
	ds_write2_b64 v4, v[94:95], v[142:143] offset1:30
	v_pk_add_f32 v[90:91], v[140:141], v[122:123]
	v_pk_add_f32 v[94:95], v[88:89], v[92:93] op_sel:[0,1] op_sel_hi:[1,0] neg_lo:[0,1] neg_hi:[0,1]
	v_pk_add_f32 v[88:89], v[88:89], v[92:93] op_sel:[0,1] op_sel_hi:[1,0]
	v_mul_u32_u24_e32 v4, 0x2d0, v11
	v_lshlrev_b32_sdwa v11, v54, v12 dst_sel:DWORD dst_unused:UNUSED_PAD src0_sel:DWORD src1_sel:BYTE_0
	v_pk_add_f32 v[90:91], v[90:91], v[126:127]
	v_add3_u32 v4, 0, v4, v11
	v_mov_b32_e32 v92, v94
	v_mov_b32_e32 v93, v89
	;; [unrolled: 1-line block ×3, first 2 shown]
	ds_write2_b64 v4, v[90:91], v[92:93] offset1:30
	ds_write_b64 v4, v[88:89] offset:480
	v_pk_add_f32 v[88:89], v[114:115], v[118:119]
	v_pk_add_f32 v[92:93], v[114:115], v[118:119] neg_lo:[0,1] neg_hi:[0,1]
	v_pk_fma_f32 v[88:89], v[88:89], 0.5, v[138:139] op_sel_hi:[1,0,1] neg_lo:[1,0,0] neg_hi:[1,0,0]
	v_pk_mul_f32 v[92:93], v[92:93], s[2:3] op_sel_hi:[1,0]
	v_pk_add_f32 v[90:91], v[138:139], v[114:115]
	v_pk_add_f32 v[94:95], v[88:89], v[92:93] op_sel:[0,1] op_sel_hi:[1,0] neg_lo:[0,1] neg_hi:[0,1]
	v_pk_add_f32 v[88:89], v[88:89], v[92:93] op_sel:[0,1] op_sel_hi:[1,0]
	v_mul_u32_u24_e32 v4, 0x2d0, v6
	v_lshlrev_b32_sdwa v6, v54, v9 dst_sel:DWORD dst_unused:UNUSED_PAD src0_sel:DWORD src1_sel:BYTE_0
	v_pk_add_f32 v[90:91], v[90:91], v[118:119]
	v_add3_u32 v4, 0, v4, v6
	v_mov_b32_e32 v92, v94
	v_mov_b32_e32 v93, v89
	;; [unrolled: 1-line block ×3, first 2 shown]
	ds_write2_b64 v4, v[90:91], v[92:93] offset1:30
	ds_write_b64 v4, v[88:89] offset:480
	v_pk_add_f32 v[88:89], v[110:111], v[112:113]
	v_pk_add_f32 v[92:93], v[110:111], v[112:113] neg_lo:[0,1] neg_hi:[0,1]
	v_pk_fma_f32 v[88:89], v[88:89], 0.5, v[98:99] op_sel_hi:[1,0,1] neg_lo:[1,0,0] neg_hi:[1,0,0]
	v_pk_mul_f32 v[92:93], v[92:93], s[2:3] op_sel_hi:[1,0]
	v_pk_add_f32 v[90:91], v[98:99], v[110:111]
	v_pk_add_f32 v[94:95], v[88:89], v[92:93] op_sel:[0,1] op_sel_hi:[1,0] neg_lo:[0,1] neg_hi:[0,1]
	v_pk_add_f32 v[88:89], v[88:89], v[92:93] op_sel:[0,1] op_sel_hi:[1,0]
	v_pk_add_f32 v[90:91], v[90:91], v[112:113]
	v_mov_b32_e32 v92, v94
	v_mov_b32_e32 v93, v89
	;; [unrolled: 1-line block ×3, first 2 shown]
	ds_write2_b64 v1, v[90:91], v[92:93] offset1:30
	ds_write_b64 v1, v[88:89] offset:480
	v_pk_add_f32 v[88:89], v[40:41], v[106:107]
	v_pk_add_f32 v[90:91], v[128:129], v[40:41]
	v_pk_add_f32 v[40:41], v[40:41], v[106:107] neg_lo:[0,1] neg_hi:[0,1]
	v_perm_b32 v1, v146, v148, s3
	v_pk_fma_f32 v[88:89], v[88:89], 0.5, v[128:129] op_sel_hi:[1,0,1] neg_lo:[1,0,0] neg_hi:[1,0,0]
	v_pk_mul_f32 v[40:41], v[40:41], s[2:3] op_sel_hi:[1,0]
	v_pk_mul_lo_u16 v1, v1, s6 op_sel_hi:[1,0]
	v_pk_add_f32 v[92:93], v[88:89], v[40:41] op_sel:[0,1] op_sel_hi:[1,0] neg_lo:[0,1] neg_hi:[0,1]
	v_pk_add_f32 v[40:41], v[88:89], v[40:41] op_sel:[0,1] op_sel_hi:[1,0]
	v_and_b32_e32 v4, 0xfff0, v1
	v_pk_add_f32 v[38:39], v[136:137], v[32:33]
	v_pk_add_f32 v[32:33], v[32:33], v[34:35] neg_lo:[0,1] neg_hi:[0,1]
	v_pk_add_f32 v[90:91], v[90:91], v[106:107]
	v_add3_u32 v3, 0, v4, v3
	v_mov_b32_e32 v88, v92
	v_mov_b32_e32 v89, v41
	;; [unrolled: 1-line block ×3, first 2 shown]
	v_pk_fma_f32 v[36:37], v[36:37], 0.5, v[136:137] op_sel_hi:[1,0,1] neg_lo:[1,0,0] neg_hi:[1,0,0]
	v_pk_mul_f32 v[32:33], v[32:33], s[2:3] op_sel_hi:[1,0]
	ds_write2_b64 v3, v[90:91], v[88:89] offset1:30
	ds_write_b64 v3, v[40:41] offset:480
	v_pk_add_f32 v[38:39], v[38:39], v[34:35]
	v_pk_add_f32 v[34:35], v[36:37], v[32:33] op_sel:[0,1] op_sel_hi:[1,0] neg_lo:[0,1] neg_hi:[0,1]
	v_pk_add_f32 v[32:33], v[36:37], v[32:33] op_sel:[0,1] op_sel_hi:[1,0]
	v_lshrrev_b32_e32 v1, 16, v1
	v_lshlrev_b32_e32 v3, 3, v147
	v_add3_u32 v1, 0, v1, v3
	v_mov_b32_e32 v36, v34
	v_mov_b32_e32 v37, v33
	;; [unrolled: 1-line block ×3, first 2 shown]
	ds_write2_b64 v1, v[38:39], v[36:37] offset1:30
	ds_write_b64 v1, v[32:33] offset:480
	v_pk_add_f32 v[30:31], v[134:135], v[24:25]
	v_pk_add_f32 v[24:25], v[24:25], v[26:27] neg_lo:[0,1] neg_hi:[0,1]
	v_perm_b32 v1, v59, v144, s3
	v_pk_fma_f32 v[28:29], v[28:29], 0.5, v[134:135] op_sel_hi:[1,0,1] neg_lo:[1,0,0] neg_hi:[1,0,0]
	v_pk_mul_f32 v[24:25], v[24:25], s[2:3] op_sel_hi:[1,0]
	v_pk_mul_lo_u16 v1, v1, s6 op_sel_hi:[1,0]
	v_mov_b32_e32 v17, v21
	v_pk_add_f32 v[30:31], v[30:31], v[26:27]
	v_pk_add_f32 v[26:27], v[28:29], v[24:25] op_sel:[0,1] op_sel_hi:[1,0] neg_lo:[0,1] neg_hi:[0,1]
	v_pk_add_f32 v[24:25], v[28:29], v[24:25] op_sel:[0,1] op_sel_hi:[1,0]
	v_lshlrev_b32_e32 v3, 3, v145
	v_and_b32_e32 v4, 0xfff0, v1
	v_pk_add_f32 v[20:21], v[16:17], v[18:19]
	v_pk_add_f32 v[22:23], v[132:133], v[16:17]
	v_pk_add_f32 v[16:17], v[16:17], v[18:19] neg_lo:[0,1] neg_hi:[0,1]
	v_add3_u32 v3, 0, v4, v3
	v_mov_b32_e32 v28, v26
	v_mov_b32_e32 v29, v25
	;; [unrolled: 1-line block ×3, first 2 shown]
	v_pk_fma_f32 v[20:21], v[20:21], 0.5, v[132:133] op_sel_hi:[1,0,1] neg_lo:[1,0,0] neg_hi:[1,0,0]
	v_pk_mul_f32 v[16:17], v[16:17], s[2:3] op_sel_hi:[1,0]
	ds_write2_b64 v3, v[30:31], v[28:29] offset1:30
	ds_write_b64 v3, v[24:25] offset:480
	v_pk_add_f32 v[22:23], v[22:23], v[18:19]
	v_pk_add_f32 v[18:19], v[20:21], v[16:17] op_sel:[0,1] op_sel_hi:[1,0] neg_lo:[0,1] neg_hi:[0,1]
	v_pk_add_f32 v[16:17], v[20:21], v[16:17] op_sel:[0,1] op_sel_hi:[1,0]
	v_lshrrev_b32_e32 v1, 16, v1
	v_lshlrev_b32_e32 v3, 3, v87
	v_add3_u32 v1, 0, v1, v3
	v_mov_b32_e32 v20, v18
	v_mov_b32_e32 v21, v17
	;; [unrolled: 1-line block ×3, first 2 shown]
	ds_write2_b64 v1, v[22:23], v[20:21] offset1:30
	ds_write_b64 v1, v[16:17] offset:480
	v_mov_b32_e32 v9, v13
	v_mov_b32_e32 v11, v15
	v_perm_b32 v1, v56, v57, s3
	v_pk_add_f32 v[12:13], v[8:9], v[10:11]
	v_pk_add_f32 v[14:15], v[130:131], v[8:9]
	v_pk_add_f32 v[8:9], v[8:9], v[10:11] neg_lo:[0,1] neg_hi:[0,1]
	v_pk_mul_lo_u16 v3, v1, s6 op_sel_hi:[1,0]
	v_pk_fma_f32 v[12:13], v[12:13], 0.5, v[130:131] op_sel_hi:[1,0,1] neg_lo:[1,0,0] neg_hi:[1,0,0]
	v_pk_mul_f32 v[8:9], v[8:9], s[2:3] op_sel_hi:[1,0]
	v_lshlrev_b32_e32 v1, 3, v58
	v_and_b32_e32 v4, 0xfff0, v3
	v_pk_add_f32 v[14:15], v[14:15], v[10:11]
	v_pk_add_f32 v[10:11], v[12:13], v[8:9] op_sel:[0,1] op_sel_hi:[1,0] neg_lo:[0,1] neg_hi:[0,1]
	v_pk_add_f32 v[8:9], v[12:13], v[8:9] op_sel:[0,1] op_sel_hi:[1,0]
	v_add3_u32 v6, 0, v4, v1
	v_lshrrev_b32_e32 v3, 16, v3
	v_lshlrev_b32_e32 v4, 3, v55
	v_mov_b32_e32 v12, v10
	v_mov_b32_e32 v13, v9
	;; [unrolled: 1-line block ×3, first 2 shown]
	v_add3_u32 v10, 0, v3, v4
	v_mov_b32_e32 v3, v7
	v_mov_b32_e32 v9, v11
	ds_write2_b64 v6, v[14:15], v[12:13] offset1:30
	v_pk_add_f32 v[4:5], v[96:97], v[0:1]
	ds_write_b64 v6, v[8:9] offset:480
	v_pk_add_f32 v[6:7], v[0:1], v[2:3]
	v_pk_add_f32 v[0:1], v[0:1], v[2:3] neg_lo:[0,1] neg_hi:[0,1]
	v_pk_fma_f32 v[6:7], v[6:7], 0.5, v[96:97] op_sel_hi:[1,0,1] neg_lo:[1,0,0] neg_hi:[1,0,0]
	v_pk_mul_f32 v[0:1], v[0:1], s[2:3] op_sel_hi:[1,0]
	v_pk_add_f32 v[4:5], v[4:5], v[2:3]
	v_pk_add_f32 v[2:3], v[6:7], v[0:1] op_sel:[0,1] op_sel_hi:[1,0] neg_lo:[0,1] neg_hi:[0,1]
	v_pk_add_f32 v[0:1], v[6:7], v[0:1] op_sel:[0,1] op_sel_hi:[1,0]
	v_mov_b32_e32 v6, v2
	v_mov_b32_e32 v7, v1
	;; [unrolled: 1-line block ×3, first 2 shown]
	s_movk_i32 s6, 0x2d83
	ds_write2_b64 v10, v[4:5], v[6:7] offset1:30
	ds_write_b64 v10, v[0:1] offset:480
	v_mul_u32_u24_sdwa v0, v67, s6 dst_sel:DWORD dst_unused:UNUSED_PAD src0_sel:WORD_0 src1_sel:DWORD
	v_mul_u32_u24_sdwa v4, v66, s6 dst_sel:DWORD dst_unused:UNUSED_PAD src0_sel:WORD_0 src1_sel:DWORD
	v_lshrrev_b32_e32 v0, 20, v0
	v_lshrrev_b32_e32 v35, 20, v4
	v_mul_lo_u16_e32 v0, 0x5a, v0
	v_mul_lo_u16_e32 v4, 0x5a, v35
	v_sub_u16_e32 v34, v67, v0
	v_sub_u16_e32 v87, v66, v4
	v_lshlrev_b32_e32 v0, 4, v34
	v_lshlrev_b32_e32 v4, 4, v87
	s_waitcnt lgkmcnt(0)
	s_barrier
	global_load_dwordx4 v[0:3], v0, s[4:5] offset:640
	s_nop 0
	global_load_dwordx4 v[8:11], v4, s[4:5] offset:640
	v_mul_u32_u24_sdwa v4, v69, s6 dst_sel:DWORD dst_unused:UNUSED_PAD src0_sel:WORD_0 src1_sel:DWORD
	v_lshrrev_b32_e32 v146, 20, v4
	v_mul_lo_u16_e32 v4, 0x5a, v146
	v_sub_u16_e32 v147, v69, v4
	v_lshlrev_b32_e32 v4, 4, v147
	global_load_dwordx4 v[24:27], v4, s[4:5] offset:640
	v_mul_u32_u24_sdwa v4, v68, s6 dst_sel:DWORD dst_unused:UNUSED_PAD src0_sel:WORD_0 src1_sel:DWORD
	v_lshrrev_b32_e32 v148, 20, v4
	v_mul_lo_u16_e32 v4, 0x5a, v148
	v_sub_u16_e32 v149, v68, v4
	v_lshlrev_b32_e32 v4, 4, v149
	;; [unrolled: 6-line block ×5, first 2 shown]
	global_load_dwordx4 v[92:95], v4, s[4:5] offset:640
	s_movk_i32 s6, 0xb7
	v_mul_lo_u16_sdwa v4, v80, s6 dst_sel:DWORD dst_unused:UNUSED_PAD src0_sel:BYTE_0 src1_sel:DWORD
	v_lshrrev_b16_e32 v55, 14, v4
	v_mul_lo_u16_e32 v4, 0x5a, v55
	v_sub_u16_e32 v155, v80, v4
	v_lshlrev_b32_sdwa v4, v53, v155 dst_sel:DWORD dst_unused:UNUSED_PAD src0_sel:DWORD src1_sel:BYTE_0
	global_load_dwordx4 v[96:99], v4, s[4:5] offset:640
	ds_read2_b64 v[14:17], v79 offset0:50 offset1:131
	ds_read2_b64 v[18:21], v86 offset0:92 offset1:173
	ds_read2_b64 v[30:33], v85 offset0:16 offset1:97
	ds_read2_b64 v[100:103], v77 offset0:110 offset1:191
	s_waitcnt vmcnt(7) lgkmcnt(3)
	v_pk_mul_f32 v[6:7], v[16:17], v[0:1] op_sel:[0,1]
	s_nop 0
	v_pk_fma_f32 v[4:5], v[16:17], v[0:1], v[6:7] op_sel:[0,0,1] op_sel_hi:[1,1,0]
	v_pk_fma_f32 v[6:7], v[16:17], v[0:1], v[6:7] op_sel:[0,0,1] op_sel_hi:[1,0,0] neg_lo:[0,0,1] neg_hi:[0,0,1]
	v_mov_b32_e32 v0, v3
	s_waitcnt lgkmcnt(2)
	v_pk_mul_f32 v[12:13], v[20:21], v[0:1] op_sel_hi:[1,0]
	s_waitcnt vmcnt(6)
	v_pk_mul_f32 v[16:17], v[14:15], v[8:9] op_sel:[0,1]
	v_pk_fma_f32 v[0:1], v[20:21], v[2:3], v[12:13] op_sel:[0,0,1] op_sel_hi:[1,1,0]
	v_pk_fma_f32 v[2:3], v[20:21], v[2:3], v[12:13] op_sel:[0,0,1] op_sel_hi:[1,0,0] neg_lo:[0,0,1] neg_hi:[0,0,1]
	v_pk_fma_f32 v[12:13], v[14:15], v[8:9], v[16:17] op_sel:[0,0,1] op_sel_hi:[1,1,0]
	v_mov_b32_e32 v2, v11
	v_pk_fma_f32 v[16:17], v[14:15], v[8:9], v[16:17] op_sel:[0,0,1] op_sel_hi:[1,0,0] neg_lo:[0,0,1] neg_hi:[0,0,1]
	v_pk_mul_f32 v[8:9], v[18:19], v[2:3] op_sel_hi:[1,0]
	s_waitcnt vmcnt(5)
	v_mov_b32_e32 v2, v27
	v_pk_fma_f32 v[14:15], v[18:19], v[10:11], v[8:9] op_sel:[0,0,1] op_sel_hi:[1,1,0]
	v_pk_fma_f32 v[18:19], v[18:19], v[10:11], v[8:9] op_sel:[0,0,1] op_sel_hi:[1,0,0] neg_lo:[0,0,1] neg_hi:[0,0,1]
	ds_read2_b64 v[8:11], v81 offset0:58 offset1:139
	s_waitcnt lgkmcnt(2)
	v_pk_mul_f32 v[22:23], v[32:33], v[24:25] op_sel:[0,1]
	v_add_u32_e32 v1, -9, v60
	v_pk_fma_f32 v[20:21], v[32:33], v[24:25], v[22:23] op_sel:[0,0,1] op_sel_hi:[1,1,0]
	v_pk_fma_f32 v[24:25], v[32:33], v[24:25], v[22:23] op_sel:[0,0,1] op_sel_hi:[1,0,0] neg_lo:[0,0,1] neg_hi:[0,0,1]
	s_waitcnt lgkmcnt(0)
	v_pk_mul_f32 v[28:29], v[10:11], v[2:3] op_sel_hi:[1,0]
	s_waitcnt vmcnt(4)
	v_mov_b32_e32 v2, v39
	v_pk_fma_f32 v[22:23], v[10:11], v[26:27], v[28:29] op_sel:[0,0,1] op_sel_hi:[1,1,0]
	v_pk_fma_f32 v[26:27], v[10:11], v[26:27], v[28:29] op_sel:[0,0,1] op_sel_hi:[1,0,0] neg_lo:[0,0,1] neg_hi:[0,0,1]
	v_pk_mul_f32 v[10:11], v[30:31], v[36:37] op_sel:[0,1]
	v_cndmask_b32_e32 v1, v1, v64, vcc
	v_pk_fma_f32 v[28:29], v[30:31], v[36:37], v[10:11] op_sel:[0,0,1] op_sel_hi:[1,1,0]
	v_pk_fma_f32 v[32:33], v[30:31], v[36:37], v[10:11] op_sel:[0,0,1] op_sel_hi:[1,0,0] neg_lo:[0,0,1] neg_hi:[0,0,1]
	v_pk_mul_f32 v[10:11], v[8:9], v[2:3] op_sel_hi:[1,0]
	s_waitcnt vmcnt(3)
	v_pk_mul_f32 v[36:37], v[102:103], v[56:57] op_sel:[0,1]
	v_pk_fma_f32 v[30:31], v[8:9], v[38:39], v[10:11] op_sel:[0,0,1] op_sel_hi:[1,1,0]
	v_pk_fma_f32 v[40:41], v[8:9], v[38:39], v[10:11] op_sel:[0,0,1] op_sel_hi:[1,0,0] neg_lo:[0,0,1] neg_hi:[0,0,1]
	ds_read2_b64 v[8:11], v75 offset0:152 offset1:233
	v_mov_b32_e32 v2, v59
	v_pk_fma_f32 v[104:105], v[102:103], v[56:57], v[36:37] op_sel:[0,0,1] op_sel_hi:[1,1,0]
	v_pk_fma_f32 v[102:103], v[102:103], v[56:57], v[36:37] op_sel:[0,0,1] op_sel_hi:[1,0,0] neg_lo:[0,0,1] neg_hi:[0,0,1]
	v_cmp_lt_u32_e32 vcc, 8, v60
	s_waitcnt lgkmcnt(0)
	v_pk_mul_f32 v[36:37], v[10:11], v[2:3] op_sel_hi:[1,0]
	s_waitcnt vmcnt(2)
	v_mov_b32_e32 v2, v91
	v_pk_fma_f32 v[106:107], v[10:11], v[58:59], v[36:37] op_sel:[0,0,1] op_sel_hi:[1,1,0]
	v_pk_fma_f32 v[108:109], v[10:11], v[58:59], v[36:37] op_sel:[0,0,1] op_sel_hi:[1,0,0] neg_lo:[0,0,1] neg_hi:[0,0,1]
	v_pk_mul_f32 v[10:11], v[100:101], v[88:89] op_sel:[0,1]
	v_mov_b32_e32 v105, v103
	v_pk_fma_f32 v[110:111], v[100:101], v[88:89], v[10:11] op_sel:[0,0,1] op_sel_hi:[1,1,0]
	v_pk_fma_f32 v[100:101], v[100:101], v[88:89], v[10:11] op_sel:[0,0,1] op_sel_hi:[1,0,0] neg_lo:[0,0,1] neg_hi:[0,0,1]
	v_pk_mul_f32 v[10:11], v[8:9], v[2:3] op_sel_hi:[1,0]
	s_waitcnt vmcnt(1)
	v_mov_b32_e32 v2, v95
	v_pk_fma_f32 v[112:113], v[8:9], v[90:91], v[10:11] op_sel:[0,0,1] op_sel_hi:[1,1,0]
	v_pk_fma_f32 v[114:115], v[8:9], v[90:91], v[10:11] op_sel:[0,0,1] op_sel_hi:[1,0,0] neg_lo:[0,0,1] neg_hi:[0,0,1]
	ds_read2_b64 v[8:11], v71 offset0:76 offset1:157
	v_mov_b32_e32 v111, v101
	v_mov_b32_e32 v113, v115
	;; [unrolled: 1-line block ×4, first 2 shown]
	s_waitcnt lgkmcnt(0)
	v_pk_mul_f32 v[36:37], v[10:11], v[92:93] op_sel:[0,1]
	v_mov_b32_e32 v31, v41
	v_pk_fma_f32 v[116:117], v[10:11], v[92:93], v[36:37] op_sel:[0,0,1] op_sel_hi:[1,1,0]
	v_pk_fma_f32 v[92:93], v[10:11], v[92:93], v[36:37] op_sel:[0,0,1] op_sel_hi:[1,0,0] neg_lo:[0,0,1] neg_hi:[0,0,1]
	ds_read2_b64 v[36:39], v84 offset0:118 offset1:199
	v_mov_b32_e32 v117, v93
	v_pk_add_f32 v[32:33], v[28:29], v[30:31]
	v_mov_b32_e32 v21, v25
	v_mov_b32_e32 v23, v27
	s_waitcnt lgkmcnt(0)
	v_pk_mul_f32 v[10:11], v[38:39], v[2:3] op_sel_hi:[1,0]
	s_waitcnt vmcnt(0)
	v_mov_b32_e32 v2, v99
	v_pk_fma_f32 v[118:119], v[38:39], v[94:95], v[10:11] op_sel:[0,0,1] op_sel_hi:[1,1,0]
	v_pk_fma_f32 v[94:95], v[38:39], v[94:95], v[10:11] op_sel:[0,0,1] op_sel_hi:[1,0,0] neg_lo:[0,0,1] neg_hi:[0,0,1]
	v_pk_mul_f32 v[10:11], v[8:9], v[96:97] op_sel:[0,1]
	v_mov_b32_e32 v119, v95
	v_pk_fma_f32 v[120:121], v[8:9], v[96:97], v[10:11] op_sel:[0,0,1] op_sel_hi:[1,1,0]
	v_pk_fma_f32 v[96:97], v[8:9], v[96:97], v[10:11] op_sel:[0,0,1] op_sel_hi:[1,0,0] neg_lo:[0,0,1] neg_hi:[0,0,1]
	v_pk_mul_f32 v[8:9], v[36:37], v[2:3] op_sel_hi:[1,0]
	v_lshlrev_b32_e32 v10, 1, v1
	v_pk_fma_f32 v[122:123], v[36:37], v[98:99], v[8:9] op_sel:[0,0,1] op_sel_hi:[1,1,0]
	v_pk_fma_f32 v[98:99], v[36:37], v[98:99], v[8:9] op_sel:[0,0,1] op_sel_hi:[1,0,0] neg_lo:[0,0,1] neg_hi:[0,0,1]
	v_mov_b32_e32 v9, 0
	v_lshlrev_b32_e32 v8, 1, v60
	v_mov_b32_e32 v11, v9
	v_lshl_add_u64 v[36:37], v[10:11], 3, s[4:5]
	v_lshl_add_u64 v[10:11], v[8:9], 3, s[4:5]
	global_load_dwordx4 v[36:39], v[36:37], off offset:640
	ds_read_b64 v[124:125], v50
	ds_read_b64 v[126:127], v49
	ds_read_b64 v[88:89], v82 offset:6480
	ds_read_b64 v[128:129], v82
	global_load_dwordx4 v[56:59], v[10:11], off offset:640
	v_lshlrev_b32_e32 v1, 3, v1
	v_mov_b32_e32 v121, v97
	v_mov_b32_e32 v123, v99
	v_pk_add_f32 v[24:25], v[20:21], v[22:23]
	v_mov_b32_e32 v13, v17
	v_mov_b32_e32 v15, v19
	v_pk_add_f32 v[16:17], v[12:13], v[14:15]
	s_waitcnt vmcnt(1)
	v_mov_b32_e32 v2, v39
	s_waitcnt vmcnt(0) lgkmcnt(1)
	v_pk_mul_f32 v[90:91], v[56:57], v[88:89] op_sel:[0,1]
	s_nop 0
	v_pk_fma_f32 v[130:131], v[56:57], v[88:89], v[90:91] op_sel:[0,0,1] op_sel_hi:[1,1,0]
	v_pk_fma_f32 v[56:57], v[56:57], v[88:89], v[90:91] op_sel:[0,0,1] op_sel_hi:[1,0,0] neg_lo:[1,0,0] neg_hi:[1,0,0]
	ds_read2_b64 v[88:91], v65 offset0:84 offset1:165
	v_mov_b32_e32 v131, v57
	s_waitcnt lgkmcnt(0)
	v_pk_mul_f32 v[132:133], v[58:59], v[88:89] op_sel:[0,1]
	s_nop 0
	v_pk_fma_f32 v[134:135], v[58:59], v[88:89], v[132:133] op_sel:[0,0,1] op_sel_hi:[1,1,0]
	v_pk_fma_f32 v[58:59], v[58:59], v[88:89], v[132:133] op_sel:[0,0,1] op_sel_hi:[1,0,0] neg_lo:[1,0,0] neg_hi:[1,0,0]
	v_pk_mul_f32 v[88:89], v[90:91], v[2:3] op_sel_hi:[1,0]
	v_mov_b32_e32 v135, v59
	v_pk_fma_f32 v[132:133], v[90:91], v[38:39], v[88:89] op_sel:[0,0,1] op_sel_hi:[1,1,0]
	v_pk_fma_f32 v[38:39], v[90:91], v[38:39], v[88:89] op_sel:[0,0,1] op_sel_hi:[1,0,0] neg_lo:[0,0,1] neg_hi:[0,0,1]
	ds_read2_b32 v[88:89], v83 offset0:246 offset1:247
	v_pk_add_f32 v[56:57], v[130:131], v[134:135]
	v_pk_add_f32 v[58:59], v[130:131], v[134:135] neg_lo:[0,1] neg_hi:[0,1]
	v_pk_fma_f32 v[56:57], v[56:57], 0.5, v[128:129] op_sel_hi:[1,0,1] neg_lo:[1,0,0] neg_hi:[1,0,0]
	v_pk_mul_f32 v[58:59], v[58:59], s[2:3] op_sel_hi:[1,0]
	s_waitcnt lgkmcnt(0)
	v_mov_b32_e32 v2, v89
	v_pk_mul_f32 v[90:91], v[2:3], v[36:37] op_sel_hi:[0,1]
	v_pk_fma_f32 v[136:137], v[36:37], v[88:89], v[90:91] op_sel:[0,0,1] op_sel_hi:[1,1,0]
	v_pk_fma_f32 v[36:37], v[36:37], v[88:89], v[90:91] op_sel:[0,0,1] op_sel_hi:[1,0,0] neg_lo:[1,0,0] neg_hi:[1,0,0]
	v_pk_add_f32 v[88:89], v[56:57], v[58:59] op_sel:[0,1] op_sel_hi:[1,0] neg_lo:[0,1] neg_hi:[0,1]
	v_pk_add_f32 v[56:57], v[56:57], v[58:59] op_sel:[0,1] op_sel_hi:[1,0]
	v_pk_add_f32 v[58:59], v[128:129], v[130:131]
	v_mov_b32_e32 v145, v57
	v_pk_add_f32 v[58:59], v[58:59], v[134:135]
	ds_read_b64 v[90:91], v44
	ds_read_b64 v[128:129], v45
	ds_read_b64 v[130:131], v46
	ds_read_b64 v[134:135], v47
	ds_read_b64 v[138:139], v48
	ds_read_b64 v[140:141], v51
	ds_read_b64 v[142:143], v52
	v_mov_b32_e32 v137, v37
	v_mov_b32_e32 v133, v39
	;; [unrolled: 1-line block ×3, first 2 shown]
	s_waitcnt lgkmcnt(0)
	s_barrier
	ds_write_b64 v82, v[56:57] offset:1440
	v_pk_add_f32 v[36:37], v[136:137], v[132:133]
	v_pk_add_f32 v[56:57], v[136:137], v[132:133] neg_lo:[0,1] neg_hi:[0,1]
	v_mov_b32_e32 v144, v88
	v_pk_fma_f32 v[36:37], v[36:37], 0.5, v[142:143] op_sel_hi:[1,0,1] neg_lo:[1,0,0] neg_hi:[1,0,0]
	v_pk_mul_f32 v[56:57], v[56:57], s[2:3] op_sel_hi:[1,0]
	v_mov_b32_e32 v2, 0x870
	ds_write2_b64 v82, v[58:59], v[144:145] offset1:90
	v_pk_add_f32 v[38:39], v[142:143], v[136:137]
	v_pk_add_f32 v[58:59], v[36:37], v[56:57] op_sel:[0,1] op_sel_hi:[1,0] neg_lo:[0,1] neg_hi:[0,1]
	v_pk_add_f32 v[36:37], v[36:37], v[56:57] op_sel:[0,1] op_sel_hi:[1,0]
	v_cndmask_b32_e32 v2, 0, v2, vcc
	v_pk_add_f32 v[38:39], v[38:39], v[132:133]
	v_add3_u32 v1, 0, v2, v1
	v_mov_b32_e32 v56, v58
	v_mov_b32_e32 v57, v37
	;; [unrolled: 1-line block ×3, first 2 shown]
	ds_write2_b64 v1, v[38:39], v[56:57] offset1:90
	ds_write_b64 v1, v[36:37] offset:1440
	v_pk_add_f32 v[36:37], v[120:121], v[122:123]
	v_pk_add_f32 v[56:57], v[120:121], v[122:123] neg_lo:[0,1] neg_hi:[0,1]
	v_pk_fma_f32 v[36:37], v[36:37], 0.5, v[140:141] op_sel_hi:[1,0,1] neg_lo:[1,0,0] neg_hi:[1,0,0]
	v_pk_mul_f32 v[56:57], v[56:57], s[2:3] op_sel_hi:[1,0]
	v_pk_add_f32 v[38:39], v[140:141], v[120:121]
	v_pk_add_f32 v[58:59], v[36:37], v[56:57] op_sel:[0,1] op_sel_hi:[1,0] neg_lo:[0,1] neg_hi:[0,1]
	v_pk_add_f32 v[36:37], v[36:37], v[56:57] op_sel:[0,1] op_sel_hi:[1,0]
	v_lshlrev_b32_sdwa v1, v54, v155 dst_sel:DWORD dst_unused:UNUSED_PAD src0_sel:DWORD src1_sel:BYTE_0
	v_mul_u32_u24_e32 v2, 0x870, v55
	v_pk_add_f32 v[38:39], v[38:39], v[122:123]
	v_add3_u32 v1, 0, v2, v1
	v_mov_b32_e32 v54, v58
	v_mov_b32_e32 v55, v37
	ds_write2_b64 v1, v[38:39], v[54:55] offset1:90
	v_mov_b32_e32 v37, v59
	v_pk_add_f32 v[54:55], v[116:117], v[118:119] neg_lo:[0,1] neg_hi:[0,1]
	ds_write_b64 v1, v[36:37] offset:1440
	v_pk_add_f32 v[36:37], v[116:117], v[118:119]
	v_pk_mul_f32 v[54:55], v[54:55], s[2:3] op_sel_hi:[1,0]
	v_perm_b32 v1, v151, v153, s3
	s_movk_i32 s3, 0x870
	v_pk_fma_f32 v[36:37], v[36:37], 0.5, v[124:125] op_sel_hi:[1,0,1] neg_lo:[1,0,0] neg_hi:[1,0,0]
	v_pk_mul_lo_u16 v1, v1, s3 op_sel_hi:[1,0]
	v_pk_add_f32 v[38:39], v[124:125], v[116:117]
	v_pk_add_f32 v[56:57], v[36:37], v[54:55] op_sel:[0,1] op_sel_hi:[1,0] neg_lo:[0,1] neg_hi:[0,1]
	v_pk_add_f32 v[36:37], v[36:37], v[54:55] op_sel:[0,1] op_sel_hi:[1,0]
	v_lshlrev_b32_e32 v2, 3, v154
	v_and_b32_e32 v5, 0xfff0, v1
	v_pk_add_f32 v[38:39], v[38:39], v[118:119]
	v_add3_u32 v2, 0, v5, v2
	v_mov_b32_e32 v54, v56
	v_mov_b32_e32 v55, v37
	;; [unrolled: 1-line block ×3, first 2 shown]
	ds_write2_b64 v2, v[38:39], v[54:55] offset1:90
	ds_write_b64 v2, v[36:37] offset:1440
	v_pk_add_f32 v[36:37], v[110:111], v[112:113]
	v_pk_add_f32 v[54:55], v[110:111], v[112:113] neg_lo:[0,1] neg_hi:[0,1]
	v_pk_fma_f32 v[36:37], v[36:37], 0.5, v[126:127] op_sel_hi:[1,0,1] neg_lo:[1,0,0] neg_hi:[1,0,0]
	v_pk_mul_f32 v[54:55], v[54:55], s[2:3] op_sel_hi:[1,0]
	v_pk_add_f32 v[38:39], v[126:127], v[110:111]
	v_pk_add_f32 v[56:57], v[36:37], v[54:55] op_sel:[0,1] op_sel_hi:[1,0] neg_lo:[0,1] neg_hi:[0,1]
	v_pk_add_f32 v[36:37], v[36:37], v[54:55] op_sel:[0,1] op_sel_hi:[1,0]
	v_lshrrev_b32_e32 v1, 16, v1
	v_lshlrev_b32_e32 v2, 3, v152
	v_pk_add_f32 v[38:39], v[38:39], v[112:113]
	v_add3_u32 v1, 0, v1, v2
	v_mov_b32_e32 v54, v56
	v_mov_b32_e32 v55, v37
	;; [unrolled: 1-line block ×3, first 2 shown]
	ds_write2_b64 v1, v[38:39], v[54:55] offset1:90
	ds_write_b64 v1, v[36:37] offset:1440
	v_pk_add_f32 v[36:37], v[104:105], v[106:107]
	v_pk_add_f32 v[54:55], v[104:105], v[106:107] neg_lo:[0,1] neg_hi:[0,1]
	v_pk_fma_f32 v[36:37], v[36:37], 0.5, v[138:139] op_sel_hi:[1,0,1] neg_lo:[1,0,0] neg_hi:[1,0,0]
	v_pk_mul_f32 v[54:55], v[54:55], s[2:3] op_sel_hi:[1,0]
	v_mul_u32_u24_e32 v1, 0x870, v150
	v_pk_add_f32 v[56:57], v[36:37], v[54:55] op_sel:[0,1] op_sel_hi:[1,0] neg_lo:[0,1] neg_hi:[0,1]
	v_pk_add_f32 v[36:37], v[36:37], v[54:55] op_sel:[0,1] op_sel_hi:[1,0]
	v_lshlrev_b32_e32 v2, 3, v73
	v_add3_u32 v1, 0, v1, v2
	v_mov_b32_e32 v55, v37
	v_mov_b32_e32 v37, v57
	v_pk_add_f32 v[38:39], v[138:139], v[104:105]
	ds_write_b64 v1, v[36:37] offset:1440
	v_pk_add_f32 v[36:37], v[134:135], v[28:29]
	v_pk_add_f32 v[28:29], v[28:29], v[30:31] neg_lo:[0,1] neg_hi:[0,1]
	v_pk_add_f32 v[38:39], v[38:39], v[106:107]
	v_mov_b32_e32 v54, v56
	v_pk_fma_f32 v[32:33], v[32:33], 0.5, v[134:135] op_sel_hi:[1,0,1] neg_lo:[1,0,0] neg_hi:[1,0,0]
	v_pk_mul_f32 v[28:29], v[28:29], s[2:3] op_sel_hi:[1,0]
	ds_write2_b64 v1, v[38:39], v[54:55] offset1:90
	v_pk_add_f32 v[36:37], v[36:37], v[30:31]
	v_pk_add_f32 v[30:31], v[32:33], v[28:29] op_sel:[0,1] op_sel_hi:[1,0] neg_lo:[0,1] neg_hi:[0,1]
	v_pk_add_f32 v[28:29], v[32:33], v[28:29] op_sel:[0,1] op_sel_hi:[1,0]
	v_mul_u32_u24_e32 v1, 0x870, v148
	v_lshlrev_b32_e32 v2, 3, v149
	v_pk_add_f32 v[26:27], v[130:131], v[20:21]
	v_pk_add_f32 v[20:21], v[20:21], v[22:23] neg_lo:[0,1] neg_hi:[0,1]
	v_add3_u32 v1, 0, v1, v2
	v_mov_b32_e32 v32, v30
	v_mov_b32_e32 v33, v29
	;; [unrolled: 1-line block ×3, first 2 shown]
	v_pk_fma_f32 v[24:25], v[24:25], 0.5, v[130:131] op_sel_hi:[1,0,1] neg_lo:[1,0,0] neg_hi:[1,0,0]
	v_pk_mul_f32 v[20:21], v[20:21], s[2:3] op_sel_hi:[1,0]
	ds_write2_b64 v1, v[36:37], v[32:33] offset1:90
	ds_write_b64 v1, v[28:29] offset:1440
	v_pk_add_f32 v[26:27], v[26:27], v[22:23]
	v_pk_add_f32 v[22:23], v[24:25], v[20:21] op_sel:[0,1] op_sel_hi:[1,0] neg_lo:[0,1] neg_hi:[0,1]
	v_pk_add_f32 v[20:21], v[24:25], v[20:21] op_sel:[0,1] op_sel_hi:[1,0]
	v_mul_u32_u24_e32 v1, 0x870, v146
	v_lshlrev_b32_e32 v2, 3, v147
	v_pk_add_f32 v[18:19], v[128:129], v[12:13]
	v_pk_add_f32 v[12:13], v[12:13], v[14:15] neg_lo:[0,1] neg_hi:[0,1]
	v_add3_u32 v1, 0, v1, v2
	v_mov_b32_e32 v24, v22
	v_mov_b32_e32 v25, v21
	;; [unrolled: 1-line block ×3, first 2 shown]
	v_pk_fma_f32 v[16:17], v[16:17], 0.5, v[128:129] op_sel_hi:[1,0,1] neg_lo:[1,0,0] neg_hi:[1,0,0]
	v_pk_mul_f32 v[12:13], v[12:13], s[2:3] op_sel_hi:[1,0]
	ds_write2_b64 v1, v[26:27], v[24:25] offset1:90
	ds_write_b64 v1, v[20:21] offset:1440
	v_pk_add_f32 v[18:19], v[18:19], v[14:15]
	v_pk_add_f32 v[14:15], v[16:17], v[12:13] op_sel:[0,1] op_sel_hi:[1,0] neg_lo:[0,1] neg_hi:[0,1]
	v_pk_add_f32 v[12:13], v[16:17], v[12:13] op_sel:[0,1] op_sel_hi:[1,0]
	v_mul_u32_u24_e32 v1, 0x870, v35
	v_lshlrev_b32_e32 v2, 3, v87
	v_mov_b32_e32 v5, v7
	v_add3_u32 v6, 0, v1, v2
	v_mov_b32_e32 v16, v14
	v_mov_b32_e32 v17, v13
	v_mov_b32_e32 v1, v3
	v_mov_b32_e32 v13, v15
	v_pk_add_f32 v[2:3], v[90:91], v[4:5]
	ds_write2_b64 v6, v[18:19], v[16:17] offset1:90
	v_pk_add_f32 v[2:3], v[2:3], v[0:1]
	ds_write_b64 v6, v[12:13] offset:1440
	v_pk_add_f32 v[6:7], v[4:5], v[0:1]
	v_pk_add_f32 v[0:1], v[4:5], v[0:1] neg_lo:[0,1] neg_hi:[0,1]
	v_pk_fma_f32 v[6:7], v[6:7], 0.5, v[90:91] op_sel_hi:[1,0,1] neg_lo:[1,0,0] neg_hi:[1,0,0]
	v_pk_mul_f32 v[0:1], v[0:1], s[2:3] op_sel_hi:[1,0]
	v_lshl_add_u32 v14, v34, 3, 0
	v_pk_add_f32 v[4:5], v[6:7], v[0:1] op_sel:[0,1] op_sel_hi:[1,0] neg_lo:[0,1] neg_hi:[0,1]
	v_pk_add_f32 v[0:1], v[6:7], v[0:1] op_sel:[0,1] op_sel_hi:[1,0]
	v_mov_b32_e32 v6, v4
	v_mov_b32_e32 v7, v1
	v_add_u32_e32 v1, 0x4000, v14
	ds_write2_b64 v1, v[2:3], v[6:7] offset0:112 offset1:202
	v_mov_b32_e32 v1, v5
	ds_write_b64 v14, v[0:1] offset:18720
	v_add_u32_e32 v0, 0x6c, v8
	v_mov_b32_e32 v1, v9
	v_lshl_add_u64 v[0:1], v[0:1], 3, s[4:5]
	v_add_u32_e32 v8, 0x10e, v8
	s_movk_i32 s3, 0x795d
	s_waitcnt lgkmcnt(0)
	s_barrier
	global_load_dwordx4 v[0:3], v[0:1], off offset:2080
	v_lshl_add_u64 v[4:5], v[8:9], 3, s[4:5]
	v_mul_u32_u24_sdwa v8, v67, s3 dst_sel:DWORD dst_unused:UNUSED_PAD src0_sel:WORD_0 src1_sel:DWORD
	v_lshrrev_b32_e32 v8, 23, v8
	v_mul_lo_u16_e32 v8, 0x10e, v8
	global_load_dwordx4 v[4:7], v[4:5], off offset:2080
	v_sub_u16_e32 v8, v67, v8
	v_lshlrev_b32_e32 v12, 4, v8
	global_load_dwordx4 v[14:17], v12, s[4:5] offset:2080
	v_mul_u32_u24_sdwa v12, v66, s3 dst_sel:DWORD dst_unused:UNUSED_PAD src0_sel:WORD_0 src1_sel:DWORD
	v_lshrrev_b32_e32 v12, 23, v12
	v_mul_lo_u16_e32 v12, 0x10e, v12
	v_sub_u16_e32 v53, v66, v12
	v_lshlrev_b32_e32 v12, 4, v53
	global_load_dwordx4 v[20:23], v12, s[4:5] offset:2080
	v_mul_u32_u24_sdwa v12, v69, s3 dst_sel:DWORD dst_unused:UNUSED_PAD src0_sel:WORD_0 src1_sel:DWORD
	v_lshrrev_b32_e32 v12, 23, v12
	v_subrev_u32_e32 v18, 27, v60
	v_cmp_gt_u32_e32 vcc, 27, v60
	v_mul_lo_u16_e32 v12, 0x10e, v12
	v_sub_u16_e32 v67, v69, v12
	v_cndmask_b32_e32 v87, v18, v78, vcc
	v_lshlrev_b32_e32 v18, 1, v87
	v_mov_b32_e32 v19, v9
	v_lshlrev_b32_e32 v12, 4, v67
	v_lshl_add_u64 v[18:19], v[18:19], 3, s[4:5]
	global_load_dwordx4 v[28:31], v12, s[4:5] offset:2080
	global_load_dwordx4 v[54:57], v[18:19], off offset:2080
	v_mul_u32_u24_sdwa v12, v68, s3 dst_sel:DWORD dst_unused:UNUSED_PAD src0_sel:WORD_0 src1_sel:DWORD
	v_lshrrev_b32_e32 v69, 23, v12
	v_mul_lo_u16_e32 v12, 0x10e, v69
	v_sub_u16_e32 v73, v68, v12
	v_lshlrev_b32_e32 v12, 4, v73
	global_load_dwordx4 v[32:35], v12, s[4:5] offset:2080
	v_lshlrev_b32_e32 v12, 1, v80
	v_mov_b32_e32 v13, v9
	v_lshl_add_u64 v[12:13], v[12:13], 3, s[4:5]
	global_load_dwordx4 v[36:39], v[12:13], off offset:2080
	ds_read2_b64 v[24:27], v77 offset0:110 offset1:191
	ds_read2_b64 v[88:91], v75 offset0:152 offset1:233
	;; [unrolled: 1-line block ×3, first 2 shown]
	v_cmp_lt_u32_e32 vcc, 26, v60
	v_lshl_add_u32 v8, v8, 3, 0
	s_waitcnt vmcnt(7) lgkmcnt(2)
	v_pk_mul_f32 v[18:19], v[24:25], v[0:1] op_sel:[0,1]
	s_nop 0
	v_pk_fma_f32 v[40:41], v[24:25], v[0:1], v[18:19] op_sel:[0,0,1] op_sel_hi:[1,1,0]
	v_pk_fma_f32 v[58:59], v[24:25], v[0:1], v[18:19] op_sel:[0,0,1] op_sel_hi:[1,0,0] neg_lo:[0,0,1] neg_hi:[0,0,1]
	v_mov_b32_e32 v0, v3
	s_waitcnt lgkmcnt(1)
	v_pk_mul_f32 v[0:1], v[88:89], v[0:1] op_sel_hi:[1,0]
	v_mov_b32_e32 v41, v59
	v_pk_fma_f32 v[98:99], v[88:89], v[2:3], v[0:1] op_sel:[0,0,1] op_sel_hi:[1,1,0]
	v_pk_fma_f32 v[100:101], v[88:89], v[2:3], v[0:1] op_sel:[0,0,1] op_sel_hi:[1,0,0] neg_lo:[0,0,1] neg_hi:[0,0,1]
	s_waitcnt vmcnt(6)
	v_pk_mul_f32 v[0:1], v[26:27], v[4:5] op_sel:[0,1]
	v_mov_b32_e32 v99, v101
	v_pk_fma_f32 v[102:103], v[26:27], v[4:5], v[0:1] op_sel:[0,0,1] op_sel_hi:[1,1,0]
	v_pk_fma_f32 v[104:105], v[26:27], v[4:5], v[0:1] op_sel:[0,0,1] op_sel_hi:[1,0,0] neg_lo:[0,0,1] neg_hi:[0,0,1]
	v_mov_b32_e32 v0, v7
	ds_read2_b64 v[24:27], v79 offset0:50 offset1:131
	v_pk_mul_f32 v[0:1], v[90:91], v[0:1] op_sel_hi:[1,0]
	v_mov_b32_e32 v103, v105
	v_pk_fma_f32 v[106:107], v[90:91], v[6:7], v[0:1] op_sel:[0,0,1] op_sel_hi:[1,1,0]
	v_pk_fma_f32 v[108:109], v[90:91], v[6:7], v[0:1] op_sel:[0,0,1] op_sel_hi:[1,0,0] neg_lo:[0,0,1] neg_hi:[0,0,1]
	ds_read2_b64 v[88:91], v86 offset0:92 offset1:173
	s_waitcnt vmcnt(5) lgkmcnt(1)
	v_pk_mul_f32 v[0:1], v[26:27], v[14:15] op_sel:[0,1]
	v_mov_b32_e32 v107, v109
	v_pk_fma_f32 v[2:3], v[26:27], v[14:15], v[0:1] op_sel:[0,0,1] op_sel_hi:[1,1,0]
	v_pk_fma_f32 v[6:7], v[26:27], v[14:15], v[0:1] op_sel:[0,0,1] op_sel_hi:[1,0,0] neg_lo:[0,0,1] neg_hi:[0,0,1]
	v_mov_b32_e32 v0, v17
	s_waitcnt lgkmcnt(0)
	v_pk_mul_f32 v[0:1], v[90:91], v[0:1] op_sel_hi:[1,0]
	v_mov_b32_e32 v3, 0x1950
	v_pk_fma_f32 v[4:5], v[90:91], v[16:17], v[0:1] op_sel:[0,0,1] op_sel_hi:[1,1,0]
	v_pk_fma_f32 v[14:15], v[90:91], v[16:17], v[0:1] op_sel:[0,0,1] op_sel_hi:[1,0,0] neg_lo:[0,0,1] neg_hi:[0,0,1]
	ds_read2_b64 v[90:93], v85 offset0:16 offset1:97
	s_waitcnt vmcnt(4)
	v_pk_mul_f32 v[0:1], v[24:25], v[20:21] op_sel:[0,1]
	v_cndmask_b32_e32 v3, 0, v3, vcc
	v_pk_fma_f32 v[16:17], v[24:25], v[20:21], v[0:1] op_sel:[0,0,1] op_sel_hi:[1,1,0]
	v_pk_fma_f32 v[20:21], v[24:25], v[20:21], v[0:1] op_sel:[0,0,1] op_sel_hi:[1,0,0] neg_lo:[0,0,1] neg_hi:[0,0,1]
	v_mov_b32_e32 v0, v23
	v_pk_mul_f32 v[0:1], v[88:89], v[0:1] op_sel_hi:[1,0]
	v_lshlrev_b32_e32 v5, 3, v87
	v_pk_fma_f32 v[18:19], v[88:89], v[22:23], v[0:1] op_sel:[0,0,1] op_sel_hi:[1,1,0]
	v_pk_fma_f32 v[22:23], v[88:89], v[22:23], v[0:1] op_sel:[0,0,1] op_sel_hi:[1,0,0] neg_lo:[0,0,1] neg_hi:[0,0,1]
	s_waitcnt vmcnt(3) lgkmcnt(0)
	v_pk_mul_f32 v[0:1], v[92:93], v[28:29] op_sel:[0,1]
	v_add3_u32 v3, 0, v3, v5
	v_pk_fma_f32 v[24:25], v[92:93], v[28:29], v[0:1] op_sel:[0,0,1] op_sel_hi:[1,1,0]
	v_pk_fma_f32 v[28:29], v[92:93], v[28:29], v[0:1] op_sel:[0,0,1] op_sel_hi:[1,0,0] neg_lo:[0,0,1] neg_hi:[0,0,1]
	v_mov_b32_e32 v0, v31
	v_pk_mul_f32 v[0:1], v[96:97], v[0:1] op_sel_hi:[1,0]
	v_lshlrev_b32_e32 v5, 3, v73
	v_pk_fma_f32 v[26:27], v[96:97], v[30:31], v[0:1] op_sel:[0,0,1] op_sel_hi:[1,1,0]
	v_pk_fma_f32 v[30:31], v[96:97], v[30:31], v[0:1] op_sel:[0,0,1] op_sel_hi:[1,0,0] neg_lo:[0,0,1] neg_hi:[0,0,1]
	s_waitcnt vmcnt(1)
	v_pk_mul_f32 v[0:1], v[90:91], v[32:33] op_sel:[0,1]
	v_mov_b32_e32 v25, v29
	v_pk_fma_f32 v[92:93], v[90:91], v[32:33], v[0:1] op_sel:[0,0,1] op_sel_hi:[1,1,0]
	v_pk_fma_f32 v[96:97], v[90:91], v[32:33], v[0:1] op_sel:[0,0,1] op_sel_hi:[1,0,0] neg_lo:[0,0,1] neg_hi:[0,0,1]
	v_mov_b32_e32 v0, v35
	ds_read2_b64 v[88:91], v71 offset0:76 offset1:157
	v_pk_mul_f32 v[0:1], v[94:95], v[0:1] op_sel_hi:[1,0]
	v_mov_b32_e32 v93, v97
	v_pk_fma_f32 v[110:111], v[94:95], v[34:35], v[0:1] op_sel:[0,0,1] op_sel_hi:[1,1,0]
	v_pk_fma_f32 v[94:95], v[94:95], v[34:35], v[0:1] op_sel:[0,0,1] op_sel_hi:[1,0,0] neg_lo:[0,0,1] neg_hi:[0,0,1]
	ds_read2_b64 v[32:35], v84 offset0:118 offset1:199
	s_waitcnt vmcnt(0) lgkmcnt(1)
	v_pk_mul_f32 v[0:1], v[88:89], v[36:37] op_sel:[0,1]
	v_mov_b32_e32 v111, v95
	v_pk_fma_f32 v[112:113], v[88:89], v[36:37], v[0:1] op_sel:[0,0,1] op_sel_hi:[1,1,0]
	v_pk_fma_f32 v[88:89], v[88:89], v[36:37], v[0:1] op_sel:[0,0,1] op_sel_hi:[1,0,0] neg_lo:[0,0,1] neg_hi:[0,0,1]
	v_mov_b32_e32 v0, v39
	s_waitcnt lgkmcnt(0)
	v_pk_mul_f32 v[0:1], v[32:33], v[0:1] op_sel_hi:[1,0]
	v_mov_b32_e32 v113, v89
	v_pk_fma_f32 v[114:115], v[32:33], v[38:39], v[0:1] op_sel:[0,0,1] op_sel_hi:[1,1,0]
	v_pk_fma_f32 v[116:117], v[32:33], v[38:39], v[0:1] op_sel:[0,0,1] op_sel_hi:[1,0,0] neg_lo:[0,0,1] neg_hi:[0,0,1]
	v_pk_mul_f32 v[0:1], v[90:91], v[54:55] op_sel:[0,1]
	v_mov_b32_e32 v115, v117
	v_pk_fma_f32 v[118:119], v[90:91], v[54:55], v[0:1] op_sel:[0,0,1] op_sel_hi:[1,1,0]
	v_pk_fma_f32 v[90:91], v[90:91], v[54:55], v[0:1] op_sel:[0,0,1] op_sel_hi:[1,0,0] neg_lo:[0,0,1] neg_hi:[0,0,1]
	v_mov_b32_e32 v0, v57
	v_pk_mul_f32 v[0:1], v[34:35], v[0:1] op_sel_hi:[1,0]
	ds_read2_b32 v[54:55], v83 offset0:246 offset1:247
	v_pk_fma_f32 v[120:121], v[34:35], v[56:57], v[0:1] op_sel:[0,0,1] op_sel_hi:[1,1,0]
	v_pk_fma_f32 v[122:123], v[34:35], v[56:57], v[0:1] op_sel:[0,0,1] op_sel_hi:[1,0,0] neg_lo:[0,0,1] neg_hi:[0,0,1]
	v_lshlrev_b32_e32 v0, 1, v64
	v_mov_b32_e32 v1, v9
	v_lshl_add_u64 v[0:1], v[0:1], 3, s[4:5]
	global_load_dwordx4 v[32:35], v[0:1], off offset:2080
	global_load_dwordx4 v[36:39], v[10:11], off offset:2080
	s_waitcnt lgkmcnt(0)
	v_mov_b32_e32 v6, v55
	v_pk_add_f32 v[88:89], v[112:113], v[114:115]
	v_mov_b32_e32 v119, v91
	v_mov_b32_e32 v121, v123
	;; [unrolled: 1-line block ×5, first 2 shown]
	s_waitcnt vmcnt(1)
	v_pk_mul_f32 v[56:57], v[6:7], v[32:33] op_sel_hi:[0,1]
	v_pk_fma_f32 v[124:125], v[32:33], v[54:55], v[56:57] op_sel:[0,0,1] op_sel_hi:[1,1,0]
	v_pk_fma_f32 v[32:33], v[32:33], v[54:55], v[56:57] op_sel:[0,0,1] op_sel_hi:[1,0,0] neg_lo:[1,0,0] neg_hi:[1,0,0]
	ds_read2_b64 v[54:57], v65 offset0:84 offset1:165
	v_mov_b32_e32 v6, v35
	v_mov_b32_e32 v125, v33
	s_waitcnt lgkmcnt(0)
	v_pk_mul_f32 v[126:127], v[56:57], v[6:7] op_sel_hi:[1,0]
	s_nop 0
	v_pk_fma_f32 v[128:129], v[56:57], v[34:35], v[126:127] op_sel:[0,0,1] op_sel_hi:[1,1,0]
	v_pk_fma_f32 v[34:35], v[56:57], v[34:35], v[126:127] op_sel:[0,0,1] op_sel_hi:[1,0,0] neg_lo:[0,0,1] neg_hi:[0,0,1]
	s_waitcnt vmcnt(0)
	v_pk_mul_f32 v[56:57], v[38:39], v[54:55] op_sel:[0,1]
	v_mov_b32_e32 v129, v35
	v_pk_fma_f32 v[126:127], v[38:39], v[54:55], v[56:57] op_sel:[0,0,1] op_sel_hi:[1,1,0]
	v_pk_fma_f32 v[38:39], v[38:39], v[54:55], v[56:57] op_sel:[0,0,1] op_sel_hi:[1,0,0] neg_lo:[1,0,0] neg_hi:[1,0,0]
	ds_read_b64 v[54:55], v82 offset:6480
	ds_read_b64 v[56:57], v50
	ds_read_b64 v[130:131], v49
	;; [unrolled: 1-line block ×4, first 2 shown]
	s_waitcnt lgkmcnt(4)
	v_pk_mul_f32 v[134:135], v[36:37], v[54:55] op_sel:[0,1]
	ds_read_b64 v[34:35], v44
	v_pk_fma_f32 v[136:137], v[36:37], v[54:55], v[134:135] op_sel:[0,0,1] op_sel_hi:[1,1,0]
	v_pk_fma_f32 v[36:37], v[36:37], v[54:55], v[134:135] op_sel:[0,0,1] op_sel_hi:[1,0,0] neg_lo:[1,0,0] neg_hi:[1,0,0]
	ds_read_b64 v[54:55], v51
	v_pk_add_f32 v[134:135], v[112:113], v[114:115] neg_lo:[0,1] neg_hi:[0,1]
	v_mov_b32_e32 v137, v37
	v_pk_mul_f32 v[134:135], v[134:135], s[2:3] op_sel_hi:[1,0]
	v_mov_b32_e32 v127, v39
	s_waitcnt lgkmcnt(0)
	v_pk_fma_f32 v[88:89], v[88:89], 0.5, v[54:55] op_sel_hi:[1,0,1] neg_lo:[1,0,0] neg_hi:[1,0,0]
	v_pk_add_f32 v[32:33], v[124:125], v[128:129]
	v_pk_add_f32 v[138:139], v[88:89], v[134:135] op_sel:[0,1] op_sel_hi:[1,0] neg_lo:[0,1] neg_hi:[0,1]
	v_pk_add_f32 v[88:89], v[88:89], v[134:135] op_sel:[0,1] op_sel_hi:[1,0]
	v_pk_add_f32 v[134:135], v[124:125], v[128:129] neg_lo:[0,1] neg_hi:[0,1]
	v_pk_add_f32 v[36:37], v[136:137], v[126:127]
	v_pk_add_f32 v[38:39], v[136:137], v[126:127] neg_lo:[0,1] neg_hi:[0,1]
	v_pk_fma_f32 v[32:33], v[32:33], 0.5, v[116:117] op_sel_hi:[1,0,1] neg_lo:[1,0,0] neg_hi:[1,0,0]
	v_pk_mul_f32 v[134:135], v[134:135], s[2:3] op_sel_hi:[1,0]
	v_pk_fma_f32 v[36:37], v[36:37], 0.5, v[132:133] op_sel_hi:[1,0,1] neg_lo:[1,0,0] neg_hi:[1,0,0]
	v_pk_mul_f32 v[38:39], v[38:39], s[2:3] op_sel_hi:[1,0]
	v_pk_add_f32 v[140:141], v[32:33], v[134:135] op_sel:[0,1] op_sel_hi:[1,0] neg_lo:[0,1] neg_hi:[0,1]
	v_pk_add_f32 v[32:33], v[32:33], v[134:135] op_sel:[0,1] op_sel_hi:[1,0]
	v_pk_add_f32 v[134:135], v[36:37], v[38:39] op_sel:[0,1] op_sel_hi:[1,0] neg_lo:[0,1] neg_hi:[0,1]
	v_pk_add_f32 v[36:37], v[36:37], v[38:39] op_sel:[0,1] op_sel_hi:[1,0]
	v_pk_add_f32 v[38:39], v[132:133], v[136:137]
	v_pk_add_f32 v[54:55], v[54:55], v[112:113]
	;; [unrolled: 1-line block ×5, first 2 shown]
	ds_read_b64 v[90:91], v48
	ds_read_b64 v[112:113], v45
	;; [unrolled: 1-line block ×4, first 2 shown]
	s_waitcnt lgkmcnt(0)
	s_barrier
	ds_write_b64 v82, v[38:39]
	v_mov_b32_e32 v38, v134
	v_mov_b32_e32 v39, v37
	;; [unrolled: 1-line block ×3, first 2 shown]
	v_pk_add_f32 v[116:117], v[116:117], v[128:129]
	ds_write_b64 v82, v[38:39] offset:2160
	ds_write_b64 v82, v[36:37] offset:4320
	ds_write_b64 v52, v[116:117]
	v_mov_b32_e32 v36, v140
	v_mov_b32_e32 v37, v33
	;; [unrolled: 1-line block ×3, first 2 shown]
	ds_write_b64 v52, v[36:37] offset:2160
	ds_write_b64 v52, v[32:33] offset:4320
	ds_write_b64 v51, v[54:55]
	v_mov_b32_e32 v32, v138
	v_mov_b32_e32 v33, v89
	ds_write_b64 v51, v[32:33] offset:2160
	v_pk_add_f32 v[32:33], v[56:57], v[118:119]
	v_mov_b32_e32 v89, v139
	v_pk_add_f32 v[32:33], v[32:33], v[120:121]
	ds_write_b64 v51, v[88:89] offset:4320
	ds_write_b64 v3, v[32:33]
	v_pk_add_f32 v[32:33], v[118:119], v[120:121]
	v_pk_add_f32 v[36:37], v[118:119], v[120:121] neg_lo:[0,1] neg_hi:[0,1]
	v_pk_fma_f32 v[32:33], v[32:33], 0.5, v[56:57] op_sel_hi:[1,0,1] neg_lo:[1,0,0] neg_hi:[1,0,0]
	v_pk_mul_f32 v[36:37], v[36:37], s[2:3] op_sel_hi:[1,0]
	v_pk_add_f32 v[28:29], v[114:115], v[24:25]
	v_pk_add_f32 v[38:39], v[32:33], v[36:37] op_sel:[0,1] op_sel_hi:[1,0] neg_lo:[0,1] neg_hi:[0,1]
	v_pk_add_f32 v[32:33], v[32:33], v[36:37] op_sel:[0,1] op_sel_hi:[1,0]
	v_mov_b32_e32 v36, v38
	v_mov_b32_e32 v37, v33
	;; [unrolled: 1-line block ×3, first 2 shown]
	ds_write_b64 v3, v[36:37] offset:2160
	ds_write_b64 v3, v[32:33] offset:4320
	v_pk_add_f32 v[32:33], v[130:131], v[40:41]
	v_pk_add_f32 v[36:37], v[90:91], v[102:103]
	;; [unrolled: 1-line block ×4, first 2 shown]
	ds_write2_b64 v83, v[32:33], v[36:37] offset0:96 offset1:177
	v_pk_add_f32 v[32:33], v[40:41], v[98:99]
	v_pk_add_f32 v[36:37], v[40:41], v[98:99] neg_lo:[0,1] neg_hi:[0,1]
	v_pk_fma_f32 v[32:33], v[32:33], 0.5, v[130:131] op_sel_hi:[1,0,1] neg_lo:[1,0,0] neg_hi:[1,0,0]
	v_pk_mul_f32 v[36:37], v[36:37], s[2:3] op_sel_hi:[1,0]
	v_pk_add_f32 v[40:41], v[102:103], v[106:107] neg_lo:[0,1] neg_hi:[0,1]
	v_pk_add_f32 v[38:39], v[32:33], v[36:37] op_sel:[0,1] op_sel_hi:[1,0] neg_lo:[0,1] neg_hi:[0,1]
	v_pk_add_f32 v[32:33], v[32:33], v[36:37] op_sel:[0,1] op_sel_hi:[1,0]
	v_pk_add_f32 v[36:37], v[102:103], v[106:107]
	v_pk_mul_f32 v[40:41], v[40:41], s[2:3] op_sel_hi:[1,0]
	v_pk_fma_f32 v[36:37], v[36:37], 0.5, v[90:91] op_sel_hi:[1,0,1] neg_lo:[1,0,0] neg_hi:[1,0,0]
	v_mul_u32_u24_e32 v3, 0x1950, v69
	v_pk_add_f32 v[54:55], v[36:37], v[40:41] op_sel:[0,1] op_sel_hi:[1,0] neg_lo:[0,1] neg_hi:[0,1]
	v_pk_add_f32 v[36:37], v[36:37], v[40:41] op_sel:[0,1] op_sel_hi:[1,0]
	v_mov_b32_e32 v41, v33
	v_mov_b32_e32 v57, v37
	;; [unrolled: 1-line block ×4, first 2 shown]
	ds_write2_b64 v85, v[32:33], v[36:37] offset0:124 offset1:205
	v_pk_add_f32 v[32:33], v[122:123], v[92:93]
	v_mov_b32_e32 v40, v38
	v_mov_b32_e32 v56, v54
	v_add3_u32 v3, 0, v3, v5
	v_pk_add_f32 v[32:33], v[32:33], v[110:111]
	ds_write2_b64 v77, v[40:41], v[56:57] offset0:110 offset1:191
	ds_write_b64 v3, v[32:33]
	v_pk_add_f32 v[32:33], v[92:93], v[110:111]
	v_pk_add_f32 v[36:37], v[92:93], v[110:111] neg_lo:[0,1] neg_hi:[0,1]
	v_pk_fma_f32 v[32:33], v[32:33], 0.5, v[122:123] op_sel_hi:[1,0,1] neg_lo:[1,0,0] neg_hi:[1,0,0]
	v_pk_mul_f32 v[36:37], v[36:37], s[2:3] op_sel_hi:[1,0]
	v_pk_add_f32 v[28:29], v[28:29], v[26:27]
	v_pk_add_f32 v[38:39], v[32:33], v[36:37] op_sel:[0,1] op_sel_hi:[1,0] neg_lo:[0,1] neg_hi:[0,1]
	v_pk_add_f32 v[32:33], v[32:33], v[36:37] op_sel:[0,1] op_sel_hi:[1,0]
	v_mov_b32_e32 v36, v38
	v_mov_b32_e32 v37, v33
	;; [unrolled: 1-line block ×3, first 2 shown]
	ds_write_b64 v3, v[36:37] offset:2160
	ds_write_b64 v3, v[32:33] offset:4320
	v_lshl_add_u32 v3, v67, 3, 0
	ds_write_b64 v3, v[28:29] offset:12960
	v_pk_add_f32 v[28:29], v[24:25], v[26:27]
	v_pk_add_f32 v[24:25], v[24:25], v[26:27] neg_lo:[0,1] neg_hi:[0,1]
	v_pk_fma_f32 v[28:29], v[28:29], 0.5, v[114:115] op_sel_hi:[1,0,1] neg_lo:[1,0,0] neg_hi:[1,0,0]
	v_pk_mul_f32 v[24:25], v[24:25], s[2:3] op_sel_hi:[1,0]
	v_pk_add_f32 v[20:21], v[112:113], v[16:17]
	v_pk_add_f32 v[26:27], v[28:29], v[24:25] op_sel:[0,1] op_sel_hi:[1,0] neg_lo:[0,1] neg_hi:[0,1]
	v_pk_add_f32 v[24:25], v[28:29], v[24:25] op_sel:[0,1] op_sel_hi:[1,0]
	v_mov_b32_e32 v28, v26
	v_mov_b32_e32 v29, v25
	;; [unrolled: 1-line block ×3, first 2 shown]
	ds_write_b64 v3, v[28:29] offset:15120
	ds_write_b64 v3, v[24:25] offset:17280
	v_lshl_add_u32 v3, v53, 3, 0
	v_pk_add_f32 v[20:21], v[20:21], v[18:19]
	ds_write_b64 v3, v[20:21] offset:12960
	v_pk_add_f32 v[20:21], v[16:17], v[18:19]
	v_pk_add_f32 v[16:17], v[16:17], v[18:19] neg_lo:[0,1] neg_hi:[0,1]
	v_pk_fma_f32 v[20:21], v[20:21], 0.5, v[112:113] op_sel_hi:[1,0,1] neg_lo:[1,0,0] neg_hi:[1,0,0]
	v_pk_mul_f32 v[16:17], v[16:17], s[2:3] op_sel_hi:[1,0]
	v_mov_b32_e32 v5, v15
	v_pk_add_f32 v[18:19], v[20:21], v[16:17] op_sel:[0,1] op_sel_hi:[1,0] neg_lo:[0,1] neg_hi:[0,1]
	v_pk_add_f32 v[16:17], v[20:21], v[16:17] op_sel:[0,1] op_sel_hi:[1,0]
	v_mov_b32_e32 v20, v18
	v_mov_b32_e32 v21, v17
	;; [unrolled: 1-line block ×3, first 2 shown]
	ds_write_b64 v3, v[20:21] offset:15120
	ds_write_b64 v3, v[16:17] offset:17280
	v_mov_b32_e32 v3, v7
	v_pk_add_f32 v[6:7], v[34:35], v[2:3]
	s_movk_i32 s3, 0x1000
	v_pk_add_f32 v[6:7], v[6:7], v[4:5]
	ds_write_b64 v8, v[6:7] offset:12960
	v_pk_add_f32 v[6:7], v[2:3], v[4:5]
	v_pk_add_f32 v[2:3], v[2:3], v[4:5] neg_lo:[0,1] neg_hi:[0,1]
	v_pk_fma_f32 v[6:7], v[6:7], 0.5, v[34:35] op_sel_hi:[1,0,1] neg_lo:[1,0,0] neg_hi:[1,0,0]
	v_pk_mul_f32 v[2:3], v[2:3], s[2:3] op_sel_hi:[1,0]
	s_nop 0
	v_pk_add_f32 v[4:5], v[6:7], v[2:3] op_sel:[0,1] op_sel_hi:[1,0] neg_lo:[0,1] neg_hi:[0,1]
	v_pk_add_f32 v[2:3], v[6:7], v[2:3] op_sel:[0,1] op_sel_hi:[1,0]
	v_mov_b32_e32 v6, v4
	v_mov_b32_e32 v7, v3
	;; [unrolled: 1-line block ×3, first 2 shown]
	ds_write_b64 v8, v[6:7] offset:15120
	ds_write_b64 v8, v[2:3] offset:17280
	v_lshlrev_b32_e32 v8, 1, v78
	v_lshl_add_u64 v[2:3], v[8:9], 3, s[4:5]
	v_lshlrev_b32_e32 v8, 1, v72
	v_lshl_add_u64 v[4:5], v[8:9], 3, s[4:5]
	;; [unrolled: 2-line block ×7, first 2 shown]
	v_add_co_u32_e32 v14, vcc, s3, v14
	s_waitcnt lgkmcnt(0)
	s_nop 0
	v_addc_co_u32_e32 v15, vcc, 0, v15, vcc
	s_barrier
	global_load_dwordx4 v[14:17], v[14:15], off offset:2304
	v_add_co_u32_e32 v18, vcc, s3, v18
	s_nop 1
	v_addc_co_u32_e32 v19, vcc, 0, v19, vcc
	global_load_dwordx4 v[18:21], v[18:19], off offset:2304
	v_add_co_u32_e32 v22, vcc, s3, v22
	s_nop 1
	v_addc_co_u32_e32 v23, vcc, 0, v23, vcc
	;; [unrolled: 4-line block ×3, first 2 shown]
	global_load_dwordx4 v[26:29], v[26:27], off offset:2304
	v_add_co_u32_e32 v6, vcc, s3, v6
	s_waitcnt vmcnt(1)
	v_mov_b32_e32 v8, v25
	v_addc_co_u32_e32 v7, vcc, 0, v7, vcc
	global_load_dwordx4 v[30:33], v[6:7], off offset:2304
	v_add_co_u32_e32 v4, vcc, s3, v4
	s_nop 1
	v_addc_co_u32_e32 v5, vcc, 0, v5, vcc
	global_load_dwordx4 v[34:37], v[4:5], off offset:2304
	v_add_co_u32_e32 v4, vcc, s3, v12
	s_nop 1
	;; [unrolled: 4-line block ×5, first 2 shown]
	v_addc_co_u32_e32 v1, vcc, 0, v11, vcc
	global_load_dwordx4 v[10:13], v[0:1], off offset:2304
	ds_read2_b64 v[92:95], v79 offset0:50 offset1:131
	ds_read2_b64 v[96:99], v86 offset0:92 offset1:173
	ds_read2_b32 v[114:115], v83 offset0:246 offset1:247
	ds_read_b64 v[120:121], v82 offset:6480
	v_cmp_ne_u32_e32 vcc, 0, v60
	s_waitcnt lgkmcnt(3)
	v_pk_mul_f32 v[2:3], v[94:95], v[14:15] op_sel:[0,1]
	v_pk_mul_f32 v[6:7], v[92:93], v[18:19] op_sel:[0,1]
	v_pk_fma_f32 v[0:1], v[94:95], v[14:15], v[2:3] op_sel:[0,0,1] op_sel_hi:[1,1,0]
	v_pk_fma_f32 v[58:59], v[94:95], v[14:15], v[2:3] op_sel:[0,0,1] op_sel_hi:[1,0,0] neg_lo:[0,0,1] neg_hi:[0,0,1]
	v_mov_b32_e32 v2, v17
	s_waitcnt lgkmcnt(2)
	v_pk_mul_f32 v[4:5], v[98:99], v[2:3] op_sel_hi:[1,0]
	v_mov_b32_e32 v1, v59
	v_pk_fma_f32 v[2:3], v[98:99], v[16:17], v[4:5] op_sel:[0,0,1] op_sel_hi:[1,1,0]
	v_pk_fma_f32 v[86:87], v[98:99], v[16:17], v[4:5] op_sel:[0,0,1] op_sel_hi:[1,0,0] neg_lo:[0,0,1] neg_hi:[0,0,1]
	v_pk_fma_f32 v[4:5], v[92:93], v[18:19], v[6:7] op_sel:[0,0,1] op_sel_hi:[1,1,0]
	v_pk_fma_f32 v[92:93], v[92:93], v[18:19], v[6:7] op_sel:[0,0,1] op_sel_hi:[1,0,0] neg_lo:[0,0,1] neg_hi:[0,0,1]
	v_mov_b32_e32 v6, v21
	ds_read2_b64 v[14:17], v85 offset0:16 offset1:97
	v_pk_mul_f32 v[18:19], v[96:97], v[6:7] op_sel_hi:[1,0]
	v_mov_b32_e32 v5, v93
	v_pk_fma_f32 v[6:7], v[96:97], v[20:21], v[18:19] op_sel:[0,0,1] op_sel_hi:[1,1,0]
	v_pk_fma_f32 v[94:95], v[96:97], v[20:21], v[18:19] op_sel:[0,0,1] op_sel_hi:[1,0,0] neg_lo:[0,0,1] neg_hi:[0,0,1]
	ds_read2_b64 v[18:21], v81 offset0:58 offset1:139
	s_waitcnt lgkmcnt(1)
	v_pk_mul_f32 v[96:97], v[16:17], v[22:23] op_sel:[0,1]
	v_mov_b32_e32 v7, v95
	v_pk_fma_f32 v[98:99], v[16:17], v[22:23], v[96:97] op_sel:[0,0,1] op_sel_hi:[1,1,0]
	v_pk_fma_f32 v[22:23], v[16:17], v[22:23], v[96:97] op_sel:[0,0,1] op_sel_hi:[1,0,0] neg_lo:[0,0,1] neg_hi:[0,0,1]
	s_waitcnt lgkmcnt(0)
	v_pk_mul_f32 v[16:17], v[20:21], v[8:9] op_sel_hi:[1,0]
	s_waitcnt vmcnt(6)
	v_mov_b32_e32 v8, v29
	v_pk_fma_f32 v[96:97], v[20:21], v[24:25], v[16:17] op_sel:[0,0,1] op_sel_hi:[1,1,0]
	v_pk_fma_f32 v[24:25], v[20:21], v[24:25], v[16:17] op_sel:[0,0,1] op_sel_hi:[1,0,0] neg_lo:[0,0,1] neg_hi:[0,0,1]
	v_pk_mul_f32 v[16:17], v[14:15], v[26:27] op_sel:[0,1]
	v_pk_mul_f32 v[20:21], v[18:19], v[8:9] op_sel_hi:[1,0]
	v_pk_fma_f32 v[100:101], v[14:15], v[26:27], v[16:17] op_sel:[0,0,1] op_sel_hi:[1,1,0]
	v_pk_fma_f32 v[26:27], v[14:15], v[26:27], v[16:17] op_sel:[0,0,1] op_sel_hi:[1,0,0] neg_lo:[0,0,1] neg_hi:[0,0,1]
	ds_read2_b64 v[14:17], v77 offset0:110 offset1:191
	v_pk_fma_f32 v[102:103], v[18:19], v[28:29], v[20:21] op_sel:[0,0,1] op_sel_hi:[1,1,0]
	v_pk_fma_f32 v[28:29], v[18:19], v[28:29], v[20:21] op_sel:[0,0,1] op_sel_hi:[1,0,0] neg_lo:[0,0,1] neg_hi:[0,0,1]
	ds_read2_b64 v[18:21], v75 offset0:152 offset1:233
	v_mov_b32_e32 v101, v27
	v_mov_b32_e32 v103, v29
	;; [unrolled: 1-line block ×5, first 2 shown]
	s_waitcnt vmcnt(5) lgkmcnt(1)
	v_pk_mul_f32 v[104:105], v[16:17], v[30:31] op_sel:[0,1]
	v_mov_b32_e32 v8, v33
	v_pk_fma_f32 v[106:107], v[16:17], v[30:31], v[104:105] op_sel:[0,0,1] op_sel_hi:[1,1,0]
	v_pk_fma_f32 v[30:31], v[16:17], v[30:31], v[104:105] op_sel:[0,0,1] op_sel_hi:[1,0,0] neg_lo:[0,0,1] neg_hi:[0,0,1]
	s_waitcnt lgkmcnt(0)
	v_pk_mul_f32 v[16:17], v[20:21], v[8:9] op_sel_hi:[1,0]
	v_mov_b32_e32 v107, v31
	v_pk_fma_f32 v[104:105], v[20:21], v[32:33], v[16:17] op_sel:[0,0,1] op_sel_hi:[1,1,0]
	v_pk_fma_f32 v[32:33], v[20:21], v[32:33], v[16:17] op_sel:[0,0,1] op_sel_hi:[1,0,0] neg_lo:[0,0,1] neg_hi:[0,0,1]
	s_waitcnt vmcnt(4)
	v_pk_mul_f32 v[16:17], v[14:15], v[34:35] op_sel:[0,1]
	v_mov_b32_e32 v8, v37
	v_pk_fma_f32 v[108:109], v[14:15], v[34:35], v[16:17] op_sel:[0,0,1] op_sel_hi:[1,1,0]
	v_pk_fma_f32 v[34:35], v[14:15], v[34:35], v[16:17] op_sel:[0,0,1] op_sel_hi:[1,0,0] neg_lo:[0,0,1] neg_hi:[0,0,1]
	ds_read2_b64 v[14:17], v71 offset0:76 offset1:157
	v_pk_mul_f32 v[20:21], v[18:19], v[8:9] op_sel_hi:[1,0]
	s_waitcnt vmcnt(3)
	v_mov_b32_e32 v8, v41
	v_pk_fma_f32 v[110:111], v[18:19], v[36:37], v[20:21] op_sel:[0,0,1] op_sel_hi:[1,1,0]
	v_pk_fma_f32 v[36:37], v[18:19], v[36:37], v[20:21] op_sel:[0,0,1] op_sel_hi:[1,0,0] neg_lo:[0,0,1] neg_hi:[0,0,1]
	ds_read2_b64 v[18:21], v84 offset0:118 offset1:199
	s_waitcnt lgkmcnt(1)
	v_pk_mul_f32 v[84:85], v[14:15], v[38:39] op_sel:[0,1]
	v_mov_b32_e32 v109, v35
	v_pk_fma_f32 v[112:113], v[14:15], v[38:39], v[84:85] op_sel:[0,0,1] op_sel_hi:[1,1,0]
	v_pk_fma_f32 v[38:39], v[14:15], v[38:39], v[84:85] op_sel:[0,0,1] op_sel_hi:[1,0,0] neg_lo:[0,0,1] neg_hi:[0,0,1]
	s_waitcnt lgkmcnt(0)
	v_pk_mul_f32 v[14:15], v[18:19], v[8:9] op_sel_hi:[1,0]
	s_waitcnt vmcnt(2)
	v_mov_b32_e32 v8, v57
	v_pk_fma_f32 v[84:85], v[18:19], v[40:41], v[14:15] op_sel:[0,0,1] op_sel_hi:[1,1,0]
	v_pk_fma_f32 v[18:19], v[18:19], v[40:41], v[14:15] op_sel:[0,0,1] op_sel_hi:[1,0,0] neg_lo:[0,0,1] neg_hi:[0,0,1]
	v_pk_mul_f32 v[14:15], v[16:17], v[54:55] op_sel:[0,1]
	v_mov_b32_e32 v113, v39
	v_pk_fma_f32 v[40:41], v[16:17], v[54:55], v[14:15] op_sel:[0,0,1] op_sel_hi:[1,1,0]
	v_pk_fma_f32 v[54:55], v[16:17], v[54:55], v[14:15] op_sel:[0,0,1] op_sel_hi:[1,0,0] neg_lo:[0,0,1] neg_hi:[0,0,1]
	v_pk_mul_f32 v[14:15], v[20:21], v[8:9] op_sel_hi:[1,0]
	v_mov_b32_e32 v8, v115
	v_pk_fma_f32 v[116:117], v[20:21], v[56:57], v[14:15] op_sel:[0,0,1] op_sel_hi:[1,1,0]
	v_pk_fma_f32 v[20:21], v[20:21], v[56:57], v[14:15] op_sel:[0,0,1] op_sel_hi:[1,0,0] neg_lo:[0,0,1] neg_hi:[0,0,1]
	ds_read2_b64 v[14:17], v65 offset0:84 offset1:165
	s_waitcnt vmcnt(1)
	v_pk_mul_f32 v[56:57], v[8:9], v[88:89] op_sel_hi:[0,1]
	v_mov_b32_e32 v8, v91
	v_pk_fma_f32 v[118:119], v[88:89], v[114:115], v[56:57] op_sel:[0,0,1] op_sel_hi:[1,1,0]
	v_pk_fma_f32 v[56:57], v[88:89], v[114:115], v[56:57] op_sel:[0,0,1] op_sel_hi:[1,0,0] neg_lo:[1,0,0] neg_hi:[1,0,0]
	s_waitcnt lgkmcnt(0)
	v_pk_mul_f32 v[88:89], v[16:17], v[8:9] op_sel_hi:[1,0]
	s_waitcnt vmcnt(0)
	v_pk_mul_f32 v[124:125], v[10:11], v[120:121] op_sel:[0,1]
	v_pk_fma_f32 v[114:115], v[16:17], v[90:91], v[88:89] op_sel:[0,0,1] op_sel_hi:[1,1,0]
	v_pk_fma_f32 v[16:17], v[16:17], v[90:91], v[88:89] op_sel:[0,0,1] op_sel_hi:[1,0,0] neg_lo:[0,0,1] neg_hi:[0,0,1]
	v_pk_mul_f32 v[88:89], v[12:13], v[14:15] op_sel:[0,1]
	v_pk_fma_f32 v[126:127], v[10:11], v[120:121], v[124:125] op_sel:[0,0,1] op_sel_hi:[1,1,0]
	v_pk_fma_f32 v[90:91], v[12:13], v[14:15], v[88:89] op_sel:[0,0,1] op_sel_hi:[1,1,0]
	v_pk_fma_f32 v[12:13], v[12:13], v[14:15], v[88:89] op_sel:[0,0,1] op_sel_hi:[1,0,0] neg_lo:[1,0,0] neg_hi:[1,0,0]
	ds_read_b64 v[14:15], v50
	ds_read_b64 v[88:89], v49
	;; [unrolled: 1-line block ×3, first 2 shown]
	v_pk_fma_f32 v[10:11], v[10:11], v[120:121], v[124:125] op_sel:[0,0,1] op_sel_hi:[1,0,0] neg_lo:[1,0,0] neg_hi:[1,0,0]
	v_mov_b32_e32 v91, v13
	v_mov_b32_e32 v127, v11
	;; [unrolled: 1-line block ×3, first 2 shown]
	s_waitcnt lgkmcnt(0)
	v_pk_add_f32 v[12:13], v[122:123], v[126:127]
	v_pk_add_f32 v[10:11], v[126:127], v[90:91]
	;; [unrolled: 1-line block ×3, first 2 shown]
	v_pk_add_f32 v[16:17], v[126:127], v[90:91] neg_lo:[0,1] neg_hi:[0,1]
	ds_read_b64 v[90:91], v52
	v_mov_b32_e32 v119, v57
	v_pk_fma_f32 v[10:11], v[10:11], 0.5, v[122:123] op_sel_hi:[1,0,1] neg_lo:[1,0,0] neg_hi:[1,0,0]
	v_pk_mul_f32 v[16:17], v[16:17], s[2:3] op_sel_hi:[1,0]
	ds_read_b64 v[120:121], v51
	ds_read_b64 v[122:123], v44
	v_pk_add_f32 v[56:57], v[10:11], v[16:17] op_sel:[0,1] op_sel_hi:[1,0] neg_lo:[0,1] neg_hi:[0,1]
	v_pk_add_f32 v[10:11], v[10:11], v[16:17] op_sel:[0,1] op_sel_hi:[1,0]
	v_pk_add_f32 v[16:17], v[118:119], v[114:115]
	v_mov_b32_e32 v85, v19
	s_waitcnt lgkmcnt(2)
	v_pk_fma_f32 v[16:17], v[16:17], 0.5, v[90:91] op_sel_hi:[1,0,1] neg_lo:[1,0,0] neg_hi:[1,0,0]
	v_pk_add_f32 v[90:91], v[90:91], v[118:119]
	v_mov_b32_e32 v41, v55
	v_pk_add_f32 v[90:91], v[90:91], v[114:115]
	v_pk_add_f32 v[114:115], v[118:119], v[114:115] neg_lo:[0,1] neg_hi:[0,1]
	v_mov_b32_e32 v117, v21
	v_pk_mul_f32 v[114:115], v[114:115], s[2:3] op_sel_hi:[1,0]
	v_mov_b32_e32 v111, v37
	v_pk_add_f32 v[118:119], v[16:17], v[114:115] op_sel:[0,1] op_sel_hi:[1,0] neg_lo:[0,1] neg_hi:[0,1]
	v_pk_add_f32 v[16:17], v[16:17], v[114:115] op_sel:[0,1] op_sel_hi:[1,0]
	ds_read_b64 v[114:115], v45
	ds_read_b64 v[124:125], v46
	;; [unrolled: 1-line block ×4, first 2 shown]
	s_waitcnt lgkmcnt(0)
	s_barrier
	ds_write_b64 v82, v[12:13]
	v_mov_b32_e32 v12, v56
	v_mov_b32_e32 v13, v11
	;; [unrolled: 1-line block ×3, first 2 shown]
	ds_write_b64 v82, v[12:13] offset:6480
	ds_write_b64 v82, v[10:11] offset:12960
	ds_write_b64 v52, v[90:91]
	v_mov_b32_e32 v10, v118
	v_mov_b32_e32 v11, v17
	;; [unrolled: 1-line block ×3, first 2 shown]
	ds_write_b64 v52, v[10:11] offset:6480
	ds_write_b64 v52, v[16:17] offset:12960
	v_pk_add_f32 v[10:11], v[112:113], v[84:85]
	v_pk_add_f32 v[16:17], v[112:113], v[84:85] neg_lo:[0,1] neg_hi:[0,1]
	v_pk_fma_f32 v[10:11], v[10:11], 0.5, v[120:121] op_sel_hi:[1,0,1] neg_lo:[1,0,0] neg_hi:[1,0,0]
	v_pk_add_f32 v[12:13], v[120:121], v[112:113]
	v_pk_mul_f32 v[16:17], v[16:17], s[2:3] op_sel_hi:[1,0]
	v_pk_add_f32 v[12:13], v[12:13], v[84:85]
	v_pk_add_f32 v[18:19], v[10:11], v[16:17] op_sel:[0,1] op_sel_hi:[1,0] neg_lo:[0,1] neg_hi:[0,1]
	v_pk_add_f32 v[10:11], v[10:11], v[16:17] op_sel:[0,1] op_sel_hi:[1,0]
	ds_write_b64 v51, v[12:13]
	v_mov_b32_e32 v13, v11
	v_mov_b32_e32 v11, v19
	ds_write_b64 v51, v[10:11] offset:12960
	v_pk_add_f32 v[10:11], v[14:15], v[40:41]
	v_mov_b32_e32 v12, v18
	v_pk_add_f32 v[10:11], v[10:11], v[116:117]
	ds_write_b64 v51, v[12:13] offset:6480
	ds_write_b64 v50, v[10:11]
	v_pk_add_f32 v[10:11], v[40:41], v[116:117]
	v_pk_add_f32 v[12:13], v[40:41], v[116:117] neg_lo:[0,1] neg_hi:[0,1]
	v_pk_fma_f32 v[10:11], v[10:11], 0.5, v[14:15] op_sel_hi:[1,0,1] neg_lo:[1,0,0] neg_hi:[1,0,0]
	v_pk_mul_f32 v[12:13], v[12:13], s[2:3] op_sel_hi:[1,0]
	v_mov_b32_e32 v105, v33
	v_pk_add_f32 v[14:15], v[10:11], v[12:13] op_sel:[0,1] op_sel_hi:[1,0] neg_lo:[0,1] neg_hi:[0,1]
	v_pk_add_f32 v[10:11], v[10:11], v[12:13] op_sel:[0,1] op_sel_hi:[1,0]
	v_mov_b32_e32 v12, v14
	v_mov_b32_e32 v13, v11
	;; [unrolled: 1-line block ×3, first 2 shown]
	ds_write_b64 v50, v[10:11] offset:12960
	v_pk_add_f32 v[10:11], v[88:89], v[108:109]
	ds_write_b64 v50, v[12:13] offset:6480
	v_pk_add_f32 v[10:11], v[10:11], v[110:111]
	ds_write_b64 v49, v[10:11]
	v_pk_add_f32 v[10:11], v[108:109], v[110:111]
	v_pk_add_f32 v[12:13], v[108:109], v[110:111] neg_lo:[0,1] neg_hi:[0,1]
	v_pk_fma_f32 v[10:11], v[10:11], 0.5, v[88:89] op_sel_hi:[1,0,1] neg_lo:[1,0,0] neg_hi:[1,0,0]
	v_pk_mul_f32 v[12:13], v[12:13], s[2:3] op_sel_hi:[1,0]
	s_nop 0
	v_pk_add_f32 v[14:15], v[10:11], v[12:13] op_sel:[0,1] op_sel_hi:[1,0] neg_lo:[0,1] neg_hi:[0,1]
	v_pk_add_f32 v[10:11], v[10:11], v[12:13] op_sel:[0,1] op_sel_hi:[1,0]
	v_mov_b32_e32 v12, v14
	v_mov_b32_e32 v13, v11
	;; [unrolled: 1-line block ×3, first 2 shown]
	ds_write_b64 v49, v[10:11] offset:12960
	v_pk_add_f32 v[10:11], v[128:129], v[106:107]
	ds_write_b64 v49, v[12:13] offset:6480
	v_pk_add_f32 v[10:11], v[10:11], v[104:105]
	ds_write_b64 v48, v[10:11]
	v_pk_add_f32 v[10:11], v[106:107], v[104:105]
	v_pk_add_f32 v[12:13], v[106:107], v[104:105] neg_lo:[0,1] neg_hi:[0,1]
	v_pk_fma_f32 v[10:11], v[10:11], 0.5, v[128:129] op_sel_hi:[1,0,1] neg_lo:[1,0,0] neg_hi:[1,0,0]
	v_pk_mul_f32 v[12:13], v[12:13], s[2:3] op_sel_hi:[1,0]
	s_nop 0
	v_pk_add_f32 v[14:15], v[10:11], v[12:13] op_sel:[0,1] op_sel_hi:[1,0] neg_lo:[0,1] neg_hi:[0,1]
	v_pk_add_f32 v[10:11], v[10:11], v[12:13] op_sel:[0,1] op_sel_hi:[1,0]
	v_mov_b32_e32 v12, v14
	v_mov_b32_e32 v13, v11
	;; [unrolled: 1-line block ×3, first 2 shown]
	ds_write_b64 v48, v[10:11] offset:12960
	v_pk_add_f32 v[10:11], v[126:127], v[100:101]
	ds_write_b64 v48, v[12:13] offset:6480
	v_pk_add_f32 v[10:11], v[10:11], v[102:103]
	ds_write_b64 v47, v[10:11]
	v_pk_add_f32 v[10:11], v[100:101], v[102:103]
	v_pk_add_f32 v[14:15], v[100:101], v[102:103] neg_lo:[0,1] neg_hi:[0,1]
	v_pk_fma_f32 v[10:11], v[10:11], 0.5, v[126:127] op_sel_hi:[1,0,1] neg_lo:[1,0,0] neg_hi:[1,0,0]
	v_pk_mul_f32 v[14:15], v[14:15], s[2:3] op_sel_hi:[1,0]
	v_pk_add_f32 v[12:13], v[122:123], v[0:1]
	v_pk_add_f32 v[16:17], v[10:11], v[14:15] op_sel:[0,1] op_sel_hi:[1,0] neg_lo:[0,1] neg_hi:[0,1]
	v_pk_add_f32 v[10:11], v[10:11], v[14:15] op_sel:[0,1] op_sel_hi:[1,0]
	v_mov_b32_e32 v14, v16
	v_mov_b32_e32 v15, v11
	;; [unrolled: 1-line block ×3, first 2 shown]
	v_pk_add_f32 v[16:17], v[124:125], v[98:99]
	ds_write_b64 v47, v[14:15] offset:6480
	v_pk_add_f32 v[16:17], v[16:17], v[96:97]
	ds_write_b64 v47, v[10:11] offset:12960
	ds_write_b64 v46, v[16:17]
	v_pk_add_f32 v[10:11], v[98:99], v[96:97]
	v_pk_add_f32 v[16:17], v[98:99], v[96:97] neg_lo:[0,1] neg_hi:[0,1]
	v_pk_fma_f32 v[10:11], v[10:11], 0.5, v[124:125] op_sel_hi:[1,0,1] neg_lo:[1,0,0] neg_hi:[1,0,0]
	v_pk_mul_f32 v[16:17], v[16:17], s[2:3] op_sel_hi:[1,0]
	v_pk_add_f32 v[14:15], v[114:115], v[4:5]
	v_pk_add_f32 v[18:19], v[10:11], v[16:17] op_sel:[0,1] op_sel_hi:[1,0] neg_lo:[0,1] neg_hi:[0,1]
	v_pk_add_f32 v[10:11], v[10:11], v[16:17] op_sel:[0,1] op_sel_hi:[1,0]
	v_mov_b32_e32 v16, v18
	v_mov_b32_e32 v17, v11
	;; [unrolled: 1-line block ×3, first 2 shown]
	v_pk_add_f32 v[14:15], v[14:15], v[6:7]
	ds_write_b64 v46, v[16:17] offset:6480
	ds_write_b64 v46, v[10:11] offset:12960
	ds_write_b64 v45, v[14:15]
	v_pk_add_f32 v[10:11], v[4:5], v[6:7]
	v_pk_add_f32 v[4:5], v[4:5], v[6:7] neg_lo:[0,1] neg_hi:[0,1]
	v_pk_fma_f32 v[10:11], v[10:11], 0.5, v[114:115] op_sel_hi:[1,0,1] neg_lo:[1,0,0] neg_hi:[1,0,0]
	v_pk_mul_f32 v[4:5], v[4:5], s[2:3] op_sel_hi:[1,0]
	v_pk_add_f32 v[12:13], v[12:13], v[2:3]
	v_pk_add_f32 v[6:7], v[10:11], v[4:5] op_sel:[0,1] op_sel_hi:[1,0] neg_lo:[0,1] neg_hi:[0,1]
	v_pk_add_f32 v[4:5], v[10:11], v[4:5] op_sel:[0,1] op_sel_hi:[1,0]
	v_mov_b32_e32 v10, v6
	v_mov_b32_e32 v11, v5
	;; [unrolled: 1-line block ×3, first 2 shown]
	ds_write_b64 v45, v[10:11] offset:6480
	ds_write_b64 v45, v[4:5] offset:12960
	ds_write_b64 v44, v[12:13]
	v_pk_add_f32 v[4:5], v[0:1], v[2:3]
	v_pk_add_f32 v[0:1], v[0:1], v[2:3] neg_lo:[0,1] neg_hi:[0,1]
	v_pk_fma_f32 v[4:5], v[4:5], 0.5, v[122:123] op_sel_hi:[1,0,1] neg_lo:[1,0,0] neg_hi:[1,0,0]
	v_pk_mul_f32 v[0:1], v[0:1], s[2:3] op_sel_hi:[1,0]
	s_add_u32 s2, s4, 0x4ba0
	v_pk_add_f32 v[2:3], v[4:5], v[0:1] op_sel:[0,1] op_sel_hi:[1,0] neg_lo:[0,1] neg_hi:[0,1]
	v_pk_add_f32 v[0:1], v[4:5], v[0:1] op_sel:[0,1] op_sel_hi:[1,0]
	v_mov_b32_e32 v4, v2
	v_mov_b32_e32 v5, v1
	;; [unrolled: 1-line block ×3, first 2 shown]
	ds_write_b64 v44, v[4:5] offset:6480
	ds_write_b64 v44, v[0:1] offset:12960
	s_waitcnt lgkmcnt(0)
	s_barrier
	ds_read_b64 v[4:5], v82
	s_addc_u32 s3, s5, 0
	v_sub_u32_e32 v6, 0, v61
                                        ; implicit-def: $vgpr2_vgpr3
                                        ; implicit-def: $vgpr1
	s_and_saveexec_b64 s[4:5], vcc
	s_xor_b64 s[4:5], exec, s[4:5]
	s_cbranch_execz .LBB0_15
; %bb.14:
	v_mov_b32_e32 v61, v9
	v_lshl_add_u64 v[0:1], v[60:61], 3, s[2:3]
	global_load_dwordx2 v[2:3], v[0:1], off
	ds_read_b64 v[0:1], v6 offset:19440
	v_mov_b32_e32 v9, 0.5
	v_mov_b32_e32 v10, v9
	s_waitcnt lgkmcnt(0)
	v_pk_add_f32 v[12:13], v[0:1], v[4:5]
	v_pk_add_f32 v[0:1], v[4:5], v[0:1] neg_lo:[0,1] neg_hi:[0,1]
	v_mov_b32_e32 v4, v13
	v_mov_b32_e32 v5, v0
	v_pk_mul_f32 v[4:5], v[4:5], 0.5 op_sel_hi:[1,0]
	s_waitcnt vmcnt(0)
	v_mov_b32_e32 v8, v3
	v_mov_b32_e32 v0, v5
	;; [unrolled: 1-line block ×4, first 2 shown]
	v_pk_mul_f32 v[0:1], v[8:9], v[0:1]
	v_pk_mul_f32 v[14:15], v[2:3], v[4:5] op_sel_hi:[0,1]
	v_pk_fma_f32 v[8:9], v[12:13], v[10:11], v[0:1]
	v_pk_fma_f32 v[10:11], v[12:13], v[10:11], v[0:1] neg_lo:[0,0,1] neg_hi:[0,0,1]
	v_add_f32_e32 v0, v14, v8
	v_sub_f32_e32 v1, v9, v15
	ds_write_b32 v82, v0
	v_pk_fma_f32 v[2:3], v[2:3], v[4:5], v[10:11] op_sel_hi:[0,1,1] neg_lo:[1,0,0] neg_hi:[1,0,0]
                                        ; implicit-def: $vgpr4_vgpr5
.LBB0_15:
	s_or_saveexec_b64 s[4:5], s[4:5]
	v_mul_i32_i24_e32 v7, 0xffffffb8, v64
	v_mul_i32_i24_e32 v8, 0xffffffb8, v80
	s_xor_b64 exec, exec, s[4:5]
	s_cbranch_execz .LBB0_17
; %bb.16:
	s_waitcnt lgkmcnt(0)
	v_mov_b32_e32 v0, v5
	v_pk_add_f32 v[0:1], v[4:5], v[0:1] neg_lo:[0,1] neg_hi:[0,1]
	v_add_f32_e32 v3, v5, v4
	v_mov_b32_e32 v1, 0
	ds_read_b32 v2, v1 offset:9724
	ds_write_b32 v82, v3
	s_waitcnt lgkmcnt(1)
	v_xor_b32_e32 v2, 0x80000000, v2
	ds_write_b32 v1, v2 offset:9724
	v_mov_b64_e32 v[2:3], v[0:1]
.LBB0_17:
	s_or_b64 exec, exec, s[4:5]
	v_mov_b32_e32 v65, 0
	s_waitcnt lgkmcnt(0)
	v_lshl_add_u64 v[4:5], v[64:65], 3, s[2:3]
	global_load_dwordx2 v[4:5], v[4:5], off
	v_mov_b32_e32 v81, v65
	v_lshl_add_u64 v[10:11], v[80:81], 3, s[2:3]
	global_load_dwordx2 v[10:11], v[10:11], off
	v_mov_b32_e32 v79, v65
	;; [unrolled: 3-line block ×3, first 2 shown]
	ds_write_b32 v82, v1 offset:4
	ds_write_b64 v6, v[2:3] offset:19440
	v_lshl_add_u64 v[2:3], v[72:73], 3, s[2:3]
	global_load_dwordx2 v[2:3], v[2:3], off
	v_mov_b32_e32 v77, v65
	v_add_u32_e32 v7, v42, v7
	v_lshl_add_u64 v[28:29], v[76:77], 3, s[2:3]
	v_add_u32_e32 v21, v43, v8
	ds_read_b64 v[8:9], v7
	ds_read_b64 v[14:15], v6 offset:18792
	global_load_dwordx2 v[28:29], v[28:29], off
	v_mov_b32_e32 v1, 0.5
	v_mov_b32_e32 v16, v1
	v_mov_b32_e32 v69, v65
	s_waitcnt lgkmcnt(0)
	v_pk_add_f32 v[30:31], v[8:9], v[14:15]
	v_pk_add_f32 v[8:9], v[8:9], v[14:15] neg_lo:[0,1] neg_hi:[0,1]
	v_mov_b32_e32 v14, v31
	v_mov_b32_e32 v15, v8
	v_pk_mul_f32 v[14:15], v[14:15], 0.5 op_sel_hi:[1,0]
	v_mov_b32_e32 v18, v1
	v_mov_b32_e32 v8, v15
	;; [unrolled: 1-line block ×10, first 2 shown]
	v_add_u32_e32 v64, 0x32a, v60
	s_waitcnt vmcnt(4)
	v_mov_b32_e32 v0, v5
	v_mov_b32_e32 v17, v5
	v_pk_mul_f32 v[8:9], v[0:1], v[8:9]
	s_waitcnt vmcnt(3)
	v_mov_b32_e32 v0, v11
	v_pk_fma_f32 v[32:33], v[30:31], v[16:17], v[8:9]
	v_pk_fma_f32 v[8:9], v[30:31], v[16:17], v[8:9] neg_lo:[0,0,1] neg_hi:[0,0,1]
	v_pk_fma_f32 v[16:17], v[4:5], v[14:15], v[32:33]
	v_pk_fma_f32 v[30:31], v[4:5], v[14:15], v[32:33] op_sel_hi:[0,1,1] neg_lo:[1,0,0] neg_hi:[1,0,0]
	v_mov_b32_e32 v17, v31
	v_pk_fma_f32 v[4:5], v[4:5], v[14:15], v[8:9] op_sel_hi:[0,1,1] neg_lo:[1,0,0] neg_hi:[1,0,0]
	ds_write_b64 v7, v[16:17]
	ds_write_b64 v6, v[4:5] offset:18792
	v_lshl_add_u64 v[14:15], v[68:69], 3, s[2:3]
	ds_read_b64 v[4:5], v21
	ds_read_b64 v[8:9], v6 offset:18144
	global_load_dwordx2 v[14:15], v[14:15], off
	v_mov_b32_e32 v19, v11
	s_waitcnt vmcnt(2)
	v_mov_b32_e32 v23, v3
	s_waitcnt vmcnt(1)
	v_mov_b32_e32 v25, v29
	s_waitcnt lgkmcnt(0)
	v_pk_add_f32 v[16:17], v[4:5], v[8:9]
	v_pk_add_f32 v[4:5], v[4:5], v[8:9] neg_lo:[0,1] neg_hi:[0,1]
	v_mov_b32_e32 v8, v17
	v_mov_b32_e32 v9, v4
	v_pk_mul_f32 v[8:9], v[8:9], 0.5 op_sel_hi:[1,0]
	s_waitcnt vmcnt(0)
	v_mov_b32_e32 v27, v15
	v_mov_b32_e32 v4, v9
	;; [unrolled: 1-line block ×3, first 2 shown]
	v_pk_mul_f32 v[4:5], v[0:1], v[4:5]
	v_mov_b32_e32 v0, v13
	v_pk_fma_f32 v[30:31], v[16:17], v[18:19], v[4:5]
	v_pk_fma_f32 v[4:5], v[16:17], v[18:19], v[4:5] neg_lo:[0,0,1] neg_hi:[0,0,1]
	v_pk_fma_f32 v[16:17], v[10:11], v[8:9], v[30:31]
	v_pk_fma_f32 v[18:19], v[10:11], v[8:9], v[30:31] op_sel_hi:[0,1,1] neg_lo:[1,0,0] neg_hi:[1,0,0]
	v_mov_b32_e32 v17, v19
	v_pk_fma_f32 v[4:5], v[10:11], v[8:9], v[4:5] op_sel_hi:[0,1,1] neg_lo:[1,0,0] neg_hi:[1,0,0]
	ds_write_b64 v21, v[16:17]
	ds_write_b64 v6, v[4:5] offset:18144
	ds_read_b64 v[4:5], v50
	ds_read_b64 v[8:9], v6 offset:17496
	v_mov_b32_e32 v21, v13
	v_lshl_add_u64 v[10:11], v[74:75], 3, s[2:3]
	global_load_dwordx2 v[10:11], v[10:11], off
	s_waitcnt lgkmcnt(0)
	v_pk_add_f32 v[16:17], v[4:5], v[8:9]
	v_pk_add_f32 v[4:5], v[4:5], v[8:9] neg_lo:[0,1] neg_hi:[0,1]
	v_mov_b32_e32 v8, v17
	v_mov_b32_e32 v9, v4
	v_pk_mul_f32 v[8:9], v[8:9], 0.5 op_sel_hi:[1,0]
	s_nop 0
	v_mov_b32_e32 v4, v9
	v_mov_b32_e32 v17, v8
	v_pk_mul_f32 v[4:5], v[0:1], v[4:5]
	v_mov_b32_e32 v0, v3
	v_pk_fma_f32 v[18:19], v[16:17], v[20:21], v[4:5]
	v_pk_fma_f32 v[4:5], v[16:17], v[20:21], v[4:5] neg_lo:[0,0,1] neg_hi:[0,0,1]
	v_pk_fma_f32 v[16:17], v[12:13], v[8:9], v[18:19]
	v_pk_fma_f32 v[18:19], v[12:13], v[8:9], v[18:19] op_sel_hi:[0,1,1] neg_lo:[1,0,0] neg_hi:[1,0,0]
	v_mov_b32_e32 v17, v19
	v_pk_fma_f32 v[4:5], v[12:13], v[8:9], v[4:5] op_sel_hi:[0,1,1] neg_lo:[1,0,0] neg_hi:[1,0,0]
	ds_write_b64 v50, v[16:17]
	ds_write_b64 v6, v[4:5] offset:17496
	ds_read_b64 v[4:5], v49
	ds_read_b64 v[8:9], v6 offset:16848
	v_lshl_add_u64 v[12:13], v[66:67], 3, s[2:3]
	s_waitcnt lgkmcnt(0)
	v_pk_add_f32 v[16:17], v[4:5], v[8:9]
	v_pk_add_f32 v[4:5], v[4:5], v[8:9] neg_lo:[0,1] neg_hi:[0,1]
	v_mov_b32_e32 v8, v17
	v_mov_b32_e32 v9, v4
	v_pk_mul_f32 v[8:9], v[8:9], 0.5 op_sel_hi:[1,0]
	s_nop 0
	v_mov_b32_e32 v4, v9
	v_mov_b32_e32 v17, v8
	v_pk_mul_f32 v[4:5], v[0:1], v[4:5]
	v_mov_b32_e32 v0, v29
	v_pk_fma_f32 v[18:19], v[16:17], v[22:23], v[4:5]
	v_pk_fma_f32 v[4:5], v[16:17], v[22:23], v[4:5] neg_lo:[0,0,1] neg_hi:[0,0,1]
	v_pk_fma_f32 v[16:17], v[2:3], v[8:9], v[18:19]
	v_pk_fma_f32 v[18:19], v[2:3], v[8:9], v[18:19] op_sel_hi:[0,1,1] neg_lo:[1,0,0] neg_hi:[1,0,0]
	v_mov_b32_e32 v17, v19
	v_pk_fma_f32 v[2:3], v[2:3], v[8:9], v[4:5] op_sel_hi:[0,1,1] neg_lo:[1,0,0] neg_hi:[1,0,0]
	ds_write_b64 v49, v[16:17]
	ds_write_b64 v6, v[2:3] offset:16848
	ds_read_b64 v[2:3], v48
	ds_read_b64 v[4:5], v6 offset:16200
	global_load_dwordx2 v[8:9], v[12:13], off
	s_waitcnt lgkmcnt(0)
	v_pk_add_f32 v[12:13], v[2:3], v[4:5]
	v_pk_add_f32 v[2:3], v[2:3], v[4:5] neg_lo:[0,1] neg_hi:[0,1]
	v_mov_b32_e32 v4, v13
	v_mov_b32_e32 v5, v2
	v_pk_mul_f32 v[4:5], v[4:5], 0.5 op_sel_hi:[1,0]
	s_nop 0
	v_mov_b32_e32 v2, v5
	v_mov_b32_e32 v13, v4
	v_pk_mul_f32 v[2:3], v[0:1], v[2:3]
	v_mov_b32_e32 v0, v15
	v_pk_fma_f32 v[16:17], v[12:13], v[24:25], v[2:3]
	v_pk_fma_f32 v[2:3], v[12:13], v[24:25], v[2:3] neg_lo:[0,0,1] neg_hi:[0,0,1]
	v_pk_fma_f32 v[12:13], v[28:29], v[4:5], v[16:17]
	v_pk_fma_f32 v[16:17], v[28:29], v[4:5], v[16:17] op_sel_hi:[0,1,1] neg_lo:[1,0,0] neg_hi:[1,0,0]
	v_mov_b32_e32 v13, v17
	v_pk_fma_f32 v[2:3], v[28:29], v[4:5], v[2:3] op_sel_hi:[0,1,1] neg_lo:[1,0,0] neg_hi:[1,0,0]
	ds_write_b64 v48, v[12:13]
	ds_write_b64 v6, v[2:3] offset:16200
	v_lshl_add_u64 v[12:13], v[70:71], 3, s[2:3]
	ds_read_b64 v[2:3], v47
	ds_read_b64 v[4:5], v6 offset:15552
	global_load_dwordx2 v[12:13], v[12:13], off
	s_waitcnt lgkmcnt(0)
	v_pk_add_f32 v[16:17], v[2:3], v[4:5]
	v_pk_add_f32 v[2:3], v[2:3], v[4:5] neg_lo:[0,1] neg_hi:[0,1]
	v_mov_b32_e32 v4, v17
	v_mov_b32_e32 v5, v2
	v_pk_mul_f32 v[4:5], v[4:5], 0.5 op_sel_hi:[1,0]
	s_nop 0
	v_mov_b32_e32 v2, v5
	v_mov_b32_e32 v17, v4
	v_pk_mul_f32 v[2:3], v[0:1], v[2:3]
	s_waitcnt vmcnt(2)
	v_mov_b32_e32 v0, v11
	v_pk_fma_f32 v[18:19], v[16:17], v[26:27], v[2:3]
	v_pk_fma_f32 v[2:3], v[16:17], v[26:27], v[2:3] neg_lo:[0,0,1] neg_hi:[0,0,1]
	v_pk_fma_f32 v[16:17], v[14:15], v[4:5], v[18:19]
	v_pk_fma_f32 v[18:19], v[14:15], v[4:5], v[18:19] op_sel_hi:[0,1,1] neg_lo:[1,0,0] neg_hi:[1,0,0]
	v_mov_b32_e32 v17, v19
	v_pk_fma_f32 v[2:3], v[14:15], v[4:5], v[2:3] op_sel_hi:[0,1,1] neg_lo:[1,0,0] neg_hi:[1,0,0]
	ds_write_b64 v47, v[16:17]
	ds_write_b64 v6, v[2:3] offset:15552
	v_lshl_add_u64 v[16:17], v[64:65], 3, s[2:3]
	ds_read_b64 v[2:3], v46
	ds_read_b64 v[4:5], v6 offset:14904
	global_load_dwordx2 v[16:17], v[16:17], off
	v_mov_b32_e32 v18, v1
	v_mov_b32_e32 v19, v11
	v_add_u32_e32 v64, 0x37b, v60
	s_waitcnt lgkmcnt(0)
	v_pk_add_f32 v[14:15], v[2:3], v[4:5]
	v_pk_add_f32 v[2:3], v[2:3], v[4:5] neg_lo:[0,1] neg_hi:[0,1]
	v_mov_b32_e32 v4, v15
	v_mov_b32_e32 v5, v2
	v_pk_mul_f32 v[4:5], v[4:5], 0.5 op_sel_hi:[1,0]
	s_nop 0
	v_mov_b32_e32 v2, v5
	v_pk_mul_f32 v[2:3], v[0:1], v[2:3]
	v_mov_b32_e32 v15, v4
	v_pk_fma_f32 v[20:21], v[14:15], v[18:19], v[2:3]
	v_pk_fma_f32 v[2:3], v[14:15], v[18:19], v[2:3] neg_lo:[0,0,1] neg_hi:[0,0,1]
	v_pk_fma_f32 v[22:23], v[10:11], v[4:5], v[20:21]
	v_pk_fma_f32 v[20:21], v[10:11], v[4:5], v[20:21] op_sel_hi:[0,1,1] neg_lo:[1,0,0] neg_hi:[1,0,0]
	v_mov_b32_e32 v23, v21
	v_pk_fma_f32 v[2:3], v[10:11], v[4:5], v[2:3] op_sel_hi:[0,1,1] neg_lo:[1,0,0] neg_hi:[1,0,0]
	ds_write_b64 v46, v[22:23]
	ds_write_b64 v6, v[2:3] offset:14904
	v_lshl_add_u64 v[18:19], v[64:65], 3, s[2:3]
	ds_read_b64 v[2:3], v45
	ds_read_b64 v[4:5], v6 offset:14256
	global_load_dwordx2 v[18:19], v[18:19], off
	v_mov_b32_e32 v14, v1
	v_add_u32_e32 v64, 0x3cc, v60
	s_waitcnt lgkmcnt(0)
	v_pk_add_f32 v[10:11], v[2:3], v[4:5]
	v_pk_add_f32 v[2:3], v[2:3], v[4:5] neg_lo:[0,1] neg_hi:[0,1]
	v_mov_b32_e32 v4, v11
	v_mov_b32_e32 v5, v2
	v_pk_mul_f32 v[4:5], v[4:5], 0.5 op_sel_hi:[1,0]
	s_waitcnt vmcnt(3)
	v_mov_b32_e32 v0, v9
	v_mov_b32_e32 v2, v5
	v_pk_mul_f32 v[2:3], v[0:1], v[2:3]
	v_mov_b32_e32 v11, v4
	v_mov_b32_e32 v15, v9
	v_pk_fma_f32 v[20:21], v[10:11], v[14:15], v[2:3]
	v_pk_fma_f32 v[2:3], v[10:11], v[14:15], v[2:3] neg_lo:[0,0,1] neg_hi:[0,0,1]
	v_pk_fma_f32 v[22:23], v[8:9], v[4:5], v[20:21]
	v_pk_fma_f32 v[20:21], v[8:9], v[4:5], v[20:21] op_sel_hi:[0,1,1] neg_lo:[1,0,0] neg_hi:[1,0,0]
	v_mov_b32_e32 v23, v21
	v_pk_fma_f32 v[2:3], v[8:9], v[4:5], v[2:3] op_sel_hi:[0,1,1] neg_lo:[1,0,0] neg_hi:[1,0,0]
	ds_write_b64 v45, v[22:23]
	ds_write_b64 v6, v[2:3] offset:14256
	v_lshl_add_u64 v[10:11], v[64:65], 3, s[2:3]
	ds_read_b64 v[2:3], v44
	ds_read_b64 v[4:5], v6 offset:13608
	global_load_dwordx2 v[10:11], v[10:11], off
	v_add_u32_e32 v64, 0x41d, v60
	s_waitcnt lgkmcnt(0)
	v_pk_add_f32 v[8:9], v[2:3], v[4:5]
	v_pk_add_f32 v[2:3], v[2:3], v[4:5] neg_lo:[0,1] neg_hi:[0,1]
	v_mov_b32_e32 v4, v9
	v_mov_b32_e32 v5, v2
	v_pk_mul_f32 v[4:5], v[4:5], 0.5 op_sel_hi:[1,0]
	s_waitcnt vmcnt(3)
	v_mov_b32_e32 v0, v13
	v_mov_b32_e32 v2, v5
	v_pk_mul_f32 v[2:3], v[0:1], v[2:3]
	v_mov_b32_e32 v9, v4
	v_mov_b32_e32 v15, v13
	v_pk_fma_f32 v[20:21], v[8:9], v[14:15], v[2:3]
	v_pk_fma_f32 v[2:3], v[8:9], v[14:15], v[2:3] neg_lo:[0,0,1] neg_hi:[0,0,1]
	v_pk_fma_f32 v[22:23], v[12:13], v[4:5], v[20:21]
	v_pk_fma_f32 v[20:21], v[12:13], v[4:5], v[20:21] op_sel_hi:[0,1,1] neg_lo:[1,0,0] neg_hi:[1,0,0]
	v_mov_b32_e32 v23, v21
	v_pk_fma_f32 v[2:3], v[12:13], v[4:5], v[2:3] op_sel_hi:[0,1,1] neg_lo:[1,0,0] neg_hi:[1,0,0]
	ds_write_b64 v44, v[22:23]
	ds_write_b64 v6, v[2:3] offset:13608
	v_lshl_add_u64 v[12:13], v[64:65], 3, s[2:3]
	ds_read_b64 v[2:3], v82 offset:6480
	ds_read_b64 v[4:5], v6 offset:12960
	global_load_dwordx2 v[12:13], v[12:13], off
	v_add_u32_e32 v64, 0x46e, v60
	s_waitcnt lgkmcnt(0)
	v_pk_add_f32 v[8:9], v[2:3], v[4:5]
	v_pk_add_f32 v[2:3], v[2:3], v[4:5] neg_lo:[0,1] neg_hi:[0,1]
	v_mov_b32_e32 v4, v9
	v_mov_b32_e32 v5, v2
	v_pk_mul_f32 v[4:5], v[4:5], 0.5 op_sel_hi:[1,0]
	s_waitcnt vmcnt(3)
	v_mov_b32_e32 v0, v17
	v_mov_b32_e32 v2, v5
	v_pk_mul_f32 v[2:3], v[0:1], v[2:3]
	v_mov_b32_e32 v9, v4
	v_mov_b32_e32 v15, v17
	v_pk_fma_f32 v[20:21], v[8:9], v[14:15], v[2:3]
	v_pk_fma_f32 v[2:3], v[8:9], v[14:15], v[2:3] neg_lo:[0,0,1] neg_hi:[0,0,1]
	v_pk_fma_f32 v[22:23], v[16:17], v[4:5], v[20:21]
	v_pk_fma_f32 v[20:21], v[16:17], v[4:5], v[20:21] op_sel_hi:[0,1,1] neg_lo:[1,0,0] neg_hi:[1,0,0]
	v_mov_b32_e32 v23, v21
	v_pk_fma_f32 v[2:3], v[16:17], v[4:5], v[2:3] op_sel_hi:[0,1,1] neg_lo:[1,0,0] neg_hi:[1,0,0]
	ds_write_b64 v82, v[22:23] offset:6480
	ds_write_b64 v6, v[2:3] offset:12960
	v_lshl_add_u64 v[14:15], v[64:65], 3, s[2:3]
	ds_read_b64 v[2:3], v82 offset:7128
	ds_read_b64 v[4:5], v6 offset:12312
	global_load_dwordx2 v[14:15], v[14:15], off
	v_mov_b32_e32 v16, v1
	s_waitcnt lgkmcnt(0)
	v_pk_add_f32 v[8:9], v[2:3], v[4:5]
	v_pk_add_f32 v[2:3], v[2:3], v[4:5] neg_lo:[0,1] neg_hi:[0,1]
	v_mov_b32_e32 v4, v9
	v_mov_b32_e32 v5, v2
	v_pk_mul_f32 v[4:5], v[4:5], 0.5 op_sel_hi:[1,0]
	s_waitcnt vmcnt(3)
	v_mov_b32_e32 v0, v19
	v_mov_b32_e32 v2, v5
	v_pk_mul_f32 v[2:3], v[0:1], v[2:3]
	v_mov_b32_e32 v9, v4
	v_mov_b32_e32 v17, v19
	v_pk_fma_f32 v[20:21], v[8:9], v[16:17], v[2:3]
	v_pk_fma_f32 v[2:3], v[8:9], v[16:17], v[2:3] neg_lo:[0,0,1] neg_hi:[0,0,1]
	v_pk_fma_f32 v[22:23], v[18:19], v[4:5], v[20:21]
	v_pk_fma_f32 v[20:21], v[18:19], v[4:5], v[20:21] op_sel_hi:[0,1,1] neg_lo:[1,0,0] neg_hi:[1,0,0]
	v_mov_b32_e32 v23, v21
	v_pk_fma_f32 v[2:3], v[18:19], v[4:5], v[2:3] op_sel_hi:[0,1,1] neg_lo:[1,0,0] neg_hi:[1,0,0]
	ds_write_b64 v82, v[22:23] offset:7128
	ds_write_b64 v6, v[2:3] offset:12312
	ds_read_b64 v[2:3], v82 offset:7776
	ds_read_b64 v[4:5], v6 offset:11664
	s_waitcnt lgkmcnt(0)
	v_pk_add_f32 v[8:9], v[2:3], v[4:5]
	v_pk_add_f32 v[2:3], v[2:3], v[4:5] neg_lo:[0,1] neg_hi:[0,1]
	v_mov_b32_e32 v4, v9
	v_mov_b32_e32 v5, v2
	v_pk_mul_f32 v[4:5], v[4:5], 0.5 op_sel_hi:[1,0]
	s_waitcnt vmcnt(2)
	v_mov_b32_e32 v0, v11
	v_mov_b32_e32 v2, v5
	v_pk_mul_f32 v[2:3], v[0:1], v[2:3]
	v_mov_b32_e32 v9, v4
	v_mov_b32_e32 v17, v11
	v_pk_fma_f32 v[18:19], v[8:9], v[16:17], v[2:3]
	v_pk_fma_f32 v[2:3], v[8:9], v[16:17], v[2:3] neg_lo:[0,0,1] neg_hi:[0,0,1]
	v_pk_fma_f32 v[20:21], v[10:11], v[4:5], v[18:19]
	v_pk_fma_f32 v[18:19], v[10:11], v[4:5], v[18:19] op_sel_hi:[0,1,1] neg_lo:[1,0,0] neg_hi:[1,0,0]
	v_mov_b32_e32 v21, v19
	v_pk_fma_f32 v[2:3], v[10:11], v[4:5], v[2:3] op_sel_hi:[0,1,1] neg_lo:[1,0,0] neg_hi:[1,0,0]
	ds_write_b64 v82, v[20:21] offset:7776
	ds_write_b64 v6, v[2:3] offset:11664
	ds_read_b64 v[2:3], v82 offset:8424
	ds_read_b64 v[4:5], v6 offset:11016
	v_mov_b32_e32 v10, v1
	s_waitcnt lgkmcnt(0)
	v_pk_add_f32 v[8:9], v[2:3], v[4:5]
	v_pk_add_f32 v[2:3], v[2:3], v[4:5] neg_lo:[0,1] neg_hi:[0,1]
	v_mov_b32_e32 v4, v9
	v_mov_b32_e32 v5, v2
	v_pk_mul_f32 v[4:5], v[4:5], 0.5 op_sel_hi:[1,0]
	s_waitcnt vmcnt(1)
	v_mov_b32_e32 v0, v13
	v_mov_b32_e32 v2, v5
	v_pk_mul_f32 v[2:3], v[0:1], v[2:3]
	v_mov_b32_e32 v9, v4
	v_mov_b32_e32 v11, v13
	v_pk_fma_f32 v[16:17], v[8:9], v[10:11], v[2:3]
	v_pk_fma_f32 v[2:3], v[8:9], v[10:11], v[2:3] neg_lo:[0,0,1] neg_hi:[0,0,1]
	v_pk_fma_f32 v[18:19], v[12:13], v[4:5], v[16:17]
	v_pk_fma_f32 v[16:17], v[12:13], v[4:5], v[16:17] op_sel_hi:[0,1,1] neg_lo:[1,0,0] neg_hi:[1,0,0]
	v_mov_b32_e32 v19, v17
	v_pk_fma_f32 v[2:3], v[12:13], v[4:5], v[2:3] op_sel_hi:[0,1,1] neg_lo:[1,0,0] neg_hi:[1,0,0]
	ds_write_b64 v82, v[18:19] offset:8424
	ds_write_b64 v6, v[2:3] offset:11016
	ds_read_b64 v[2:3], v82 offset:9072
	ds_read_b64 v[4:5], v6 offset:10368
	s_waitcnt lgkmcnt(0)
	v_pk_add_f32 v[8:9], v[2:3], v[4:5]
	v_pk_add_f32 v[2:3], v[2:3], v[4:5] neg_lo:[0,1] neg_hi:[0,1]
	v_mov_b32_e32 v4, v9
	v_mov_b32_e32 v5, v2
	v_pk_mul_f32 v[4:5], v[4:5], 0.5 op_sel_hi:[1,0]
	s_waitcnt vmcnt(0)
	v_mov_b32_e32 v0, v15
	v_mov_b32_e32 v2, v5
	v_pk_mul_f32 v[2:3], v[0:1], v[2:3]
	v_mov_b32_e32 v9, v4
	v_mov_b32_e32 v0, v1
	;; [unrolled: 1-line block ×3, first 2 shown]
	v_pk_fma_f32 v[10:11], v[8:9], v[0:1], v[2:3]
	v_pk_fma_f32 v[0:1], v[8:9], v[0:1], v[2:3] neg_lo:[0,0,1] neg_hi:[0,0,1]
	v_pk_fma_f32 v[12:13], v[14:15], v[4:5], v[10:11]
	v_pk_fma_f32 v[10:11], v[14:15], v[4:5], v[10:11] op_sel_hi:[0,1,1] neg_lo:[1,0,0] neg_hi:[1,0,0]
	v_mov_b32_e32 v13, v11
	v_pk_fma_f32 v[0:1], v[14:15], v[4:5], v[0:1] op_sel_hi:[0,1,1] neg_lo:[1,0,0] neg_hi:[1,0,0]
	ds_write_b64 v82, v[12:13] offset:9072
	ds_write_b64 v6, v[0:1] offset:10368
	s_waitcnt lgkmcnt(0)
	s_barrier
	s_and_saveexec_b64 s[2:3], s[0:1]
	s_cbranch_execz .LBB0_20
; %bb.18:
	ds_read2_b64 v[0:3], v82 offset1:81
	v_mov_b32_e32 v61, v65
	ds_read2_b64 v[4:7], v82 offset0:162 offset1:243
	v_lshl_add_u64 v[12:13], v[60:61], 3, v[62:63]
	v_add_u32_e32 v8, 0xc00, v82
	s_waitcnt lgkmcnt(1)
	global_store_dwordx2 v[12:13], v[0:1], off
	global_store_dwordx2 v[12:13], v[2:3], off offset:648
	v_add_u32_e32 v0, 0x800, v82
	ds_read2_b64 v[0:3], v0 offset0:68 offset1:149
	ds_read2_b64 v[8:11], v8 offset0:102 offset1:183
	s_waitcnt lgkmcnt(2)
	global_store_dwordx2 v[12:13], v[4:5], off offset:1296
	global_store_dwordx2 v[12:13], v[6:7], off offset:1944
	s_waitcnt lgkmcnt(1)
	global_store_dwordx2 v[12:13], v[0:1], off offset:2592
	global_store_dwordx2 v[12:13], v[2:3], off offset:3240
	s_waitcnt lgkmcnt(0)
	global_store_dwordx2 v[12:13], v[8:9], off offset:3888
	v_add_u32_e32 v0, 0x1000, v82
	ds_read2_b64 v[0:3], v0 offset0:136 offset1:217
	s_movk_i32 s0, 0x1000
	v_add_u32_e32 v4, 0x1800, v82
	v_add_co_u32_e32 v14, vcc, s0, v12
	ds_read2_b64 v[4:7], v4 offset0:42 offset1:123
	s_nop 0
	v_addc_co_u32_e32 v15, vcc, 0, v13, vcc
	v_add_u32_e32 v8, 0x1c00, v82
	global_store_dwordx2 v[14:15], v[10:11], off offset:440
	ds_read2_b64 v[8:11], v8 offset0:76 offset1:157
	s_waitcnt lgkmcnt(2)
	global_store_dwordx2 v[14:15], v[0:1], off offset:1088
	global_store_dwordx2 v[14:15], v[2:3], off offset:1736
	s_waitcnt lgkmcnt(1)
	global_store_dwordx2 v[14:15], v[4:5], off offset:2384
	global_store_dwordx2 v[14:15], v[6:7], off offset:3032
	s_waitcnt lgkmcnt(0)
	global_store_dwordx2 v[14:15], v[8:9], off offset:3680
	v_add_u32_e32 v0, 0x2000, v82
	ds_read2_b64 v[0:3], v0 offset0:110 offset1:191
	s_movk_i32 s0, 0x2000
	v_add_u32_e32 v4, 0x2800, v82
	v_add_co_u32_e32 v14, vcc, s0, v12
	ds_read2_b64 v[4:7], v4 offset0:16 offset1:97
	s_nop 0
	v_addc_co_u32_e32 v15, vcc, 0, v13, vcc
	v_add_u32_e32 v8, 0x2c00, v82
	global_store_dwordx2 v[14:15], v[10:11], off offset:232
	;; [unrolled: 19-line block ×3, first 2 shown]
	ds_read2_b64 v[8:11], v8 offset0:152 offset1:233
	s_waitcnt lgkmcnt(2)
	global_store_dwordx2 v[14:15], v[0:1], off offset:672
	global_store_dwordx2 v[14:15], v[2:3], off offset:1320
	s_waitcnt lgkmcnt(1)
	global_store_dwordx2 v[14:15], v[4:5], off offset:1968
	global_store_dwordx2 v[14:15], v[6:7], off offset:2616
	s_waitcnt lgkmcnt(0)
	global_store_dwordx2 v[14:15], v[8:9], off offset:3264
	global_store_dwordx2 v[14:15], v[10:11], off offset:3912
	v_add_u32_e32 v0, 0x4000, v82
	ds_read2_b64 v[0:3], v0 offset0:58 offset1:139
	v_add_u32_e32 v4, 0x4400, v82
	v_add_co_u32_e32 v8, vcc, 0x4000, v12
	ds_read2_b64 v[4:7], v4 offset0:92 offset1:173
	s_nop 0
	v_addc_co_u32_e32 v9, vcc, 0, v13, vcc
	s_movk_i32 s0, 0x50
	v_cmp_eq_u32_e32 vcc, s0, v60
	s_waitcnt lgkmcnt(1)
	global_store_dwordx2 v[8:9], v[0:1], off offset:464
	global_store_dwordx2 v[8:9], v[2:3], off offset:1112
	s_waitcnt lgkmcnt(0)
	global_store_dwordx2 v[8:9], v[4:5], off offset:1760
	global_store_dwordx2 v[8:9], v[6:7], off offset:2408
	s_and_b64 exec, exec, vcc
	s_cbranch_execz .LBB0_20
; %bb.19:
	v_mov_b32_e32 v0, 0
	ds_read_b64 v[0:1], v0 offset:19440
	v_add_co_u32_e32 v2, vcc, 0x4000, v62
	s_nop 1
	v_addc_co_u32_e32 v3, vcc, 0, v63, vcc
	s_waitcnt lgkmcnt(0)
	global_store_dwordx2 v[2:3], v[0:1], off offset:3056
.LBB0_20:
	s_endpgm
	.section	.rodata,"a",@progbits
	.p2align	6, 0x0
	.amdhsa_kernel fft_rtc_back_len2430_factors_10_3_3_3_3_3_wgs_81_tpt_81_halfLds_sp_ip_CI_unitstride_sbrr_R2C_dirReg
		.amdhsa_group_segment_fixed_size 0
		.amdhsa_private_segment_fixed_size 0
		.amdhsa_kernarg_size 88
		.amdhsa_user_sgpr_count 2
		.amdhsa_user_sgpr_dispatch_ptr 0
		.amdhsa_user_sgpr_queue_ptr 0
		.amdhsa_user_sgpr_kernarg_segment_ptr 1
		.amdhsa_user_sgpr_dispatch_id 0
		.amdhsa_user_sgpr_kernarg_preload_length 0
		.amdhsa_user_sgpr_kernarg_preload_offset 0
		.amdhsa_user_sgpr_private_segment_size 0
		.amdhsa_uses_dynamic_stack 0
		.amdhsa_enable_private_segment 0
		.amdhsa_system_sgpr_workgroup_id_x 1
		.amdhsa_system_sgpr_workgroup_id_y 0
		.amdhsa_system_sgpr_workgroup_id_z 0
		.amdhsa_system_sgpr_workgroup_info 0
		.amdhsa_system_vgpr_workitem_id 0
		.amdhsa_next_free_vgpr 156
		.amdhsa_next_free_sgpr 22
		.amdhsa_accum_offset 156
		.amdhsa_reserve_vcc 1
		.amdhsa_float_round_mode_32 0
		.amdhsa_float_round_mode_16_64 0
		.amdhsa_float_denorm_mode_32 3
		.amdhsa_float_denorm_mode_16_64 3
		.amdhsa_dx10_clamp 1
		.amdhsa_ieee_mode 1
		.amdhsa_fp16_overflow 0
		.amdhsa_tg_split 0
		.amdhsa_exception_fp_ieee_invalid_op 0
		.amdhsa_exception_fp_denorm_src 0
		.amdhsa_exception_fp_ieee_div_zero 0
		.amdhsa_exception_fp_ieee_overflow 0
		.amdhsa_exception_fp_ieee_underflow 0
		.amdhsa_exception_fp_ieee_inexact 0
		.amdhsa_exception_int_div_zero 0
	.end_amdhsa_kernel
	.text
.Lfunc_end0:
	.size	fft_rtc_back_len2430_factors_10_3_3_3_3_3_wgs_81_tpt_81_halfLds_sp_ip_CI_unitstride_sbrr_R2C_dirReg, .Lfunc_end0-fft_rtc_back_len2430_factors_10_3_3_3_3_3_wgs_81_tpt_81_halfLds_sp_ip_CI_unitstride_sbrr_R2C_dirReg
                                        ; -- End function
	.section	.AMDGPU.csdata,"",@progbits
; Kernel info:
; codeLenInByte = 19964
; NumSgprs: 28
; NumVgprs: 156
; NumAgprs: 0
; TotalNumVgprs: 156
; ScratchSize: 0
; MemoryBound: 0
; FloatMode: 240
; IeeeMode: 1
; LDSByteSize: 0 bytes/workgroup (compile time only)
; SGPRBlocks: 3
; VGPRBlocks: 19
; NumSGPRsForWavesPerEU: 28
; NumVGPRsForWavesPerEU: 156
; AccumOffset: 156
; Occupancy: 3
; WaveLimiterHint : 1
; COMPUTE_PGM_RSRC2:SCRATCH_EN: 0
; COMPUTE_PGM_RSRC2:USER_SGPR: 2
; COMPUTE_PGM_RSRC2:TRAP_HANDLER: 0
; COMPUTE_PGM_RSRC2:TGID_X_EN: 1
; COMPUTE_PGM_RSRC2:TGID_Y_EN: 0
; COMPUTE_PGM_RSRC2:TGID_Z_EN: 0
; COMPUTE_PGM_RSRC2:TIDIG_COMP_CNT: 0
; COMPUTE_PGM_RSRC3_GFX90A:ACCUM_OFFSET: 38
; COMPUTE_PGM_RSRC3_GFX90A:TG_SPLIT: 0
	.text
	.p2alignl 6, 3212836864
	.fill 256, 4, 3212836864
	.type	__hip_cuid_cecf2a4e97b4069,@object ; @__hip_cuid_cecf2a4e97b4069
	.section	.bss,"aw",@nobits
	.globl	__hip_cuid_cecf2a4e97b4069
__hip_cuid_cecf2a4e97b4069:
	.byte	0                               ; 0x0
	.size	__hip_cuid_cecf2a4e97b4069, 1

	.ident	"AMD clang version 19.0.0git (https://github.com/RadeonOpenCompute/llvm-project roc-6.4.0 25133 c7fe45cf4b819c5991fe208aaa96edf142730f1d)"
	.section	".note.GNU-stack","",@progbits
	.addrsig
	.addrsig_sym __hip_cuid_cecf2a4e97b4069
	.amdgpu_metadata
---
amdhsa.kernels:
  - .agpr_count:     0
    .args:
      - .actual_access:  read_only
        .address_space:  global
        .offset:         0
        .size:           8
        .value_kind:     global_buffer
      - .offset:         8
        .size:           8
        .value_kind:     by_value
      - .actual_access:  read_only
        .address_space:  global
        .offset:         16
        .size:           8
        .value_kind:     global_buffer
      - .actual_access:  read_only
        .address_space:  global
        .offset:         24
        .size:           8
        .value_kind:     global_buffer
      - .offset:         32
        .size:           8
        .value_kind:     by_value
      - .actual_access:  read_only
        .address_space:  global
        .offset:         40
        .size:           8
        .value_kind:     global_buffer
      - .actual_access:  read_only
        .address_space:  global
        .offset:         48
        .size:           8
        .value_kind:     global_buffer
      - .offset:         56
        .size:           4
        .value_kind:     by_value
      - .actual_access:  read_only
        .address_space:  global
        .offset:         64
        .size:           8
        .value_kind:     global_buffer
      - .actual_access:  read_only
        .address_space:  global
        .offset:         72
        .size:           8
        .value_kind:     global_buffer
      - .address_space:  global
        .offset:         80
        .size:           8
        .value_kind:     global_buffer
    .group_segment_fixed_size: 0
    .kernarg_segment_align: 8
    .kernarg_segment_size: 88
    .language:       OpenCL C
    .language_version:
      - 2
      - 0
    .max_flat_workgroup_size: 81
    .name:           fft_rtc_back_len2430_factors_10_3_3_3_3_3_wgs_81_tpt_81_halfLds_sp_ip_CI_unitstride_sbrr_R2C_dirReg
    .private_segment_fixed_size: 0
    .sgpr_count:     28
    .sgpr_spill_count: 0
    .symbol:         fft_rtc_back_len2430_factors_10_3_3_3_3_3_wgs_81_tpt_81_halfLds_sp_ip_CI_unitstride_sbrr_R2C_dirReg.kd
    .uniform_work_group_size: 1
    .uses_dynamic_stack: false
    .vgpr_count:     156
    .vgpr_spill_count: 0
    .wavefront_size: 64
amdhsa.target:   amdgcn-amd-amdhsa--gfx950
amdhsa.version:
  - 1
  - 2
...

	.end_amdgpu_metadata
